;; amdgpu-corpus repo=ROCm/rocFFT kind=compiled arch=gfx906 opt=O3
	.text
	.amdgcn_target "amdgcn-amd-amdhsa--gfx906"
	.amdhsa_code_object_version 6
	.protected	bluestein_single_back_len882_dim1_half_op_CI_CI ; -- Begin function bluestein_single_back_len882_dim1_half_op_CI_CI
	.globl	bluestein_single_back_len882_dim1_half_op_CI_CI
	.p2align	8
	.type	bluestein_single_back_len882_dim1_half_op_CI_CI,@function
bluestein_single_back_len882_dim1_half_op_CI_CI: ; @bluestein_single_back_len882_dim1_half_op_CI_CI
; %bb.0:
	s_load_dwordx4 s[8:11], s[4:5], 0x28
	v_mul_u32_u24_e32 v1, 0x411, v0
	v_add_u32_sdwa v14, s6, v1 dst_sel:DWORD dst_unused:UNUSED_PAD src0_sel:DWORD src1_sel:WORD_1
	v_mov_b32_e32 v15, 0
	s_waitcnt lgkmcnt(0)
	v_cmp_gt_u64_e32 vcc, s[8:9], v[14:15]
	s_and_saveexec_b64 s[0:1], vcc
	s_cbranch_execz .LBB0_15
; %bb.1:
	s_load_dwordx4 s[12:15], s[4:5], 0x18
	v_mov_b32_e32 v2, 63
	v_mul_lo_u16_sdwa v1, v1, v2 dst_sel:DWORD dst_unused:UNUSED_PAD src0_sel:WORD_1 src1_sel:DWORD
	v_sub_u16_e32 v46, v0, v1
	v_lshlrev_b32_e32 v37, 2, v46
	s_waitcnt lgkmcnt(0)
	s_load_dwordx4 s[0:3], s[12:13], 0x0
	s_waitcnt lgkmcnt(0)
	v_mad_u64_u32 v[0:1], s[6:7], s2, v14, 0
	v_mad_u64_u32 v[2:3], s[6:7], s0, v46, 0
	s_mul_i32 s6, s1, 0x62
	s_mul_hi_u32 s7, s0, 0x62
	v_mad_u64_u32 v[4:5], s[2:3], s3, v14, v[1:2]
	s_add_i32 s7, s7, s6
	s_mul_i32 s6, s0, 0x62
	v_mad_u64_u32 v[5:6], s[2:3], s1, v46, v[3:4]
	v_mov_b32_e32 v1, v4
	v_lshlrev_b64 v[0:1], 2, v[0:1]
	s_load_dwordx2 s[2:3], s[4:5], 0x0
	v_mov_b32_e32 v6, s11
	v_mov_b32_e32 v3, v5
	v_add_co_u32_e32 v4, vcc, s10, v0
	v_addc_co_u32_e32 v5, vcc, v6, v1, vcc
	v_lshlrev_b64 v[0:1], 2, v[2:3]
	s_lshl_b64 s[12:13], s[6:7], 2
	v_add_co_u32_e32 v0, vcc, v4, v0
	v_addc_co_u32_e32 v1, vcc, v5, v1, vcc
	global_load_dword v2, v[0:1], off
	s_waitcnt lgkmcnt(0)
	global_load_dword v47, v37, s[2:3]
	v_mov_b32_e32 v3, s13
	v_add_co_u32_e32 v0, vcc, s12, v0
	v_addc_co_u32_e32 v1, vcc, v1, v3, vcc
	global_load_dword v4, v[0:1], off
	global_load_dword v45, v37, s[2:3] offset:392
	v_add_co_u32_e32 v0, vcc, s12, v0
	v_addc_co_u32_e32 v1, vcc, v1, v3, vcc
	global_load_dword v5, v[0:1], off
	global_load_dword v44, v37, s[2:3] offset:784
	;; [unrolled: 4-line block ×8, first 2 shown]
	v_mov_b32_e32 v3, s3
	v_add_co_u32_e32 v12, vcc, s2, v37
	v_addc_co_u32_e32 v13, vcc, 0, v3, vcc
	s_load_dwordx2 s[6:7], s[4:5], 0x38
	s_load_dwordx4 s[8:11], s[14:15], 0x0
	v_cmp_gt_u16_e32 vcc, 35, v46
	s_waitcnt vmcnt(17)
	v_lshrrev_b32_e32 v3, 16, v2
	s_waitcnt vmcnt(16)
	v_mul_f16_sdwa v15, v47, v2 dst_sel:DWORD dst_unused:UNUSED_PAD src0_sel:WORD_1 src1_sel:DWORD
	v_mul_f16_sdwa v16, v47, v3 dst_sel:DWORD dst_unused:UNUSED_PAD src0_sel:WORD_1 src1_sel:DWORD
	v_fma_f16 v3, v47, v3, -v15
	v_fma_f16 v2, v47, v2, v16
	v_pack_b32_f16 v2, v2, v3
	s_waitcnt vmcnt(15)
	v_lshrrev_b32_e32 v15, 16, v4
	s_waitcnt vmcnt(14)
	v_mul_f16_sdwa v17, v45, v4 dst_sel:DWORD dst_unused:UNUSED_PAD src0_sel:WORD_1 src1_sel:DWORD
	v_mul_f16_sdwa v16, v45, v15 dst_sel:DWORD dst_unused:UNUSED_PAD src0_sel:WORD_1 src1_sel:DWORD
	v_fma_f16 v15, v45, v15, -v17
	v_fma_f16 v3, v45, v4, v16
	s_waitcnt vmcnt(13)
	v_lshrrev_b32_e32 v17, 16, v5
	s_waitcnt vmcnt(12)
	v_mul_f16_sdwa v18, v44, v5 dst_sel:DWORD dst_unused:UNUSED_PAD src0_sel:WORD_1 src1_sel:DWORD
	v_mul_f16_sdwa v4, v44, v17 dst_sel:DWORD dst_unused:UNUSED_PAD src0_sel:WORD_1 src1_sel:DWORD
	v_pack_b32_f16 v3, v3, v15
	v_fma_f16 v4, v44, v5, v4
	ds_write2_b32 v37, v2, v3 offset1:98
	v_fma_f16 v2, v44, v17, -v18
	v_pack_b32_f16 v3, v4, v2
	s_waitcnt vmcnt(11)
	v_lshrrev_b32_e32 v2, 16, v6
	s_waitcnt vmcnt(10)
	v_mul_f16_sdwa v4, v43, v2 dst_sel:DWORD dst_unused:UNUSED_PAD src0_sel:WORD_1 src1_sel:DWORD
	v_mul_f16_sdwa v5, v43, v6 dst_sel:DWORD dst_unused:UNUSED_PAD src0_sel:WORD_1 src1_sel:DWORD
	v_fma_f16 v4, v43, v6, v4
	v_fma_f16 v2, v43, v2, -v5
	v_pack_b32_f16 v4, v4, v2
	v_add_u32_e32 v2, 0x200, v37
	ds_write2_b32 v2, v3, v4 offset0:68 offset1:166
	s_waitcnt vmcnt(9)
	v_lshrrev_b32_e32 v3, 16, v7
	s_waitcnt vmcnt(8)
	v_mul_f16_sdwa v4, v42, v3 dst_sel:DWORD dst_unused:UNUSED_PAD src0_sel:WORD_1 src1_sel:DWORD
	v_mul_f16_sdwa v5, v42, v7 dst_sel:DWORD dst_unused:UNUSED_PAD src0_sel:WORD_1 src1_sel:DWORD
	v_fma_f16 v4, v42, v7, v4
	v_fma_f16 v3, v42, v3, -v5
	v_pack_b32_f16 v4, v4, v3
	s_waitcnt vmcnt(7)
	v_lshrrev_b32_e32 v3, 16, v8
	s_waitcnt vmcnt(6)
	v_mul_f16_sdwa v5, v41, v3 dst_sel:DWORD dst_unused:UNUSED_PAD src0_sel:WORD_1 src1_sel:DWORD
	v_mul_f16_sdwa v6, v41, v8 dst_sel:DWORD dst_unused:UNUSED_PAD src0_sel:WORD_1 src1_sel:DWORD
	v_fma_f16 v5, v41, v8, v5
	v_fma_f16 v3, v41, v3, -v6
	v_pack_b32_f16 v5, v5, v3
	v_add_u32_e32 v3, 0x400, v37
	ds_write2_b32 v3, v4, v5 offset0:136 offset1:234
	s_waitcnt vmcnt(5)
	v_lshrrev_b32_e32 v4, 16, v9
	s_waitcnt vmcnt(4)
	v_mul_f16_sdwa v5, v40, v4 dst_sel:DWORD dst_unused:UNUSED_PAD src0_sel:WORD_1 src1_sel:DWORD
	v_mul_f16_sdwa v6, v40, v9 dst_sel:DWORD dst_unused:UNUSED_PAD src0_sel:WORD_1 src1_sel:DWORD
	v_fma_f16 v5, v40, v9, v5
	;; [unrolled: 18-line block ×3, first 2 shown]
	v_fma_f16 v4, v38, v4, -v6
	v_pack_b32_f16 v4, v5, v4
	ds_write_b32 v37, v4 offset:3136
	s_and_saveexec_b64 s[14:15], vcc
	s_cbranch_execz .LBB0_3
; %bb.2:
	v_mov_b32_e32 v4, 0xfffff4bc
	v_mad_u64_u32 v[0:1], s[16:17], s0, v4, v[0:1]
	s_mulk_i32 s1, 0xf4bc
	s_sub_i32 s0, s1, s0
	v_add_u32_e32 v1, s0, v1
	global_load_dword v4, v[0:1], off
	global_load_dword v5, v[12:13], off offset:252
	v_mov_b32_e32 v6, s13
	v_add_co_u32_e64 v0, s[0:1], s12, v0
	v_addc_co_u32_e64 v1, s[0:1], v1, v6, s[0:1]
	global_load_dword v7, v[0:1], off
	global_load_dword v8, v[12:13], off offset:644
	v_add_co_u32_e64 v0, s[0:1], s12, v0
	v_addc_co_u32_e64 v1, s[0:1], v1, v6, s[0:1]
	global_load_dword v9, v[0:1], off
	global_load_dword v11, v[12:13], off offset:1036
	;; [unrolled: 4-line block ×8, first 2 shown]
	s_waitcnt vmcnt(17)
	v_lshrrev_b32_e32 v0, 16, v4
	s_waitcnt vmcnt(16)
	v_mul_f16_sdwa v1, v5, v4 dst_sel:DWORD dst_unused:UNUSED_PAD src0_sel:WORD_1 src1_sel:DWORD
	v_mul_f16_sdwa v26, v5, v0 dst_sel:DWORD dst_unused:UNUSED_PAD src0_sel:WORD_1 src1_sel:DWORD
	v_fma_f16 v0, v5, v0, -v1
	v_fma_f16 v4, v5, v4, v26
	v_pack_b32_f16 v0, v4, v0
	s_waitcnt vmcnt(15)
	v_lshrrev_b32_e32 v1, 16, v7
	s_waitcnt vmcnt(14)
	v_mul_f16_sdwa v27, v8, v7 dst_sel:DWORD dst_unused:UNUSED_PAD src0_sel:WORD_1 src1_sel:DWORD
	v_mul_f16_sdwa v5, v8, v1 dst_sel:DWORD dst_unused:UNUSED_PAD src0_sel:WORD_1 src1_sel:DWORD
	v_fma_f16 v1, v8, v1, -v27
	v_fma_f16 v4, v8, v7, v5
	s_waitcnt vmcnt(13)
	v_lshrrev_b32_e32 v26, 16, v9
	s_waitcnt vmcnt(12)
	v_mul_f16_sdwa v27, v11, v9 dst_sel:DWORD dst_unused:UNUSED_PAD src0_sel:WORD_1 src1_sel:DWORD
	v_mul_f16_sdwa v5, v11, v26 dst_sel:DWORD dst_unused:UNUSED_PAD src0_sel:WORD_1 src1_sel:DWORD
	v_fma_f16 v7, v11, v26, -v27
	v_pack_b32_f16 v1, v4, v1
	s_waitcnt vmcnt(11)
	v_lshrrev_b32_e32 v8, 16, v15
	s_waitcnt vmcnt(10)
	v_mul_f16_sdwa v26, v16, v15 dst_sel:DWORD dst_unused:UNUSED_PAD src0_sel:WORD_1 src1_sel:DWORD
	v_fma_f16 v4, v11, v9, v5
	v_mul_f16_sdwa v5, v16, v8 dst_sel:DWORD dst_unused:UNUSED_PAD src0_sel:WORD_1 src1_sel:DWORD
	v_fma_f16 v8, v16, v8, -v26
	s_waitcnt vmcnt(9)
	v_lshrrev_b32_e32 v9, 16, v17
	s_waitcnt vmcnt(8)
	v_mul_f16_sdwa v11, v18, v17 dst_sel:DWORD dst_unused:UNUSED_PAD src0_sel:WORD_1 src1_sel:DWORD
	ds_write2_b32 v37, v0, v1 offset0:63 offset1:161
	v_pack_b32_f16 v0, v4, v7
	v_fma_f16 v1, v16, v15, v5
	s_waitcnt vmcnt(7)
	v_lshrrev_b32_e32 v7, 16, v19
	v_mul_f16_sdwa v4, v18, v9 dst_sel:DWORD dst_unused:UNUSED_PAD src0_sel:WORD_1 src1_sel:DWORD
	v_fma_f16 v5, v18, v9, -v11
	s_waitcnt vmcnt(6)
	v_mul_f16_sdwa v9, v20, v19 dst_sel:DWORD dst_unused:UNUSED_PAD src0_sel:WORD_1 src1_sel:DWORD
	v_pack_b32_f16 v1, v1, v8
	v_mul_f16_sdwa v8, v20, v7 dst_sel:DWORD dst_unused:UNUSED_PAD src0_sel:WORD_1 src1_sel:DWORD
	v_fma_f16 v4, v18, v17, v4
	v_fma_f16 v7, v20, v7, -v9
	ds_write2_b32 v3, v0, v1 offset0:3 offset1:101
	v_fma_f16 v1, v20, v19, v8
	v_pack_b32_f16 v0, v4, v5
	v_pack_b32_f16 v1, v1, v7
	v_add_u32_e32 v4, 0x600, v37
	ds_write2_b32 v4, v0, v1 offset0:71 offset1:169
	s_waitcnt vmcnt(5)
	v_lshrrev_b32_e32 v0, 16, v21
	s_waitcnt vmcnt(4)
	v_mul_f16_sdwa v1, v22, v0 dst_sel:DWORD dst_unused:UNUSED_PAD src0_sel:WORD_1 src1_sel:DWORD
	v_mul_f16_sdwa v4, v22, v21 dst_sel:DWORD dst_unused:UNUSED_PAD src0_sel:WORD_1 src1_sel:DWORD
	v_fma_f16 v1, v22, v21, v1
	v_fma_f16 v0, v22, v0, -v4
	v_pack_b32_f16 v0, v1, v0
	s_waitcnt vmcnt(3)
	v_lshrrev_b32_e32 v1, 16, v23
	s_waitcnt vmcnt(2)
	v_mul_f16_sdwa v4, v24, v1 dst_sel:DWORD dst_unused:UNUSED_PAD src0_sel:WORD_1 src1_sel:DWORD
	v_mul_f16_sdwa v5, v24, v23 dst_sel:DWORD dst_unused:UNUSED_PAD src0_sel:WORD_1 src1_sel:DWORD
	v_fma_f16 v4, v24, v23, v4
	v_fma_f16 v1, v24, v1, -v5
	v_pack_b32_f16 v1, v4, v1
	ds_write2_b32 v10, v0, v1 offset0:139 offset1:237
	s_waitcnt vmcnt(1)
	v_lshrrev_b32_e32 v0, 16, v6
	s_waitcnt vmcnt(0)
	v_mul_f16_sdwa v1, v25, v0 dst_sel:DWORD dst_unused:UNUSED_PAD src0_sel:WORD_1 src1_sel:DWORD
	v_mul_f16_sdwa v4, v25, v6 dst_sel:DWORD dst_unused:UNUSED_PAD src0_sel:WORD_1 src1_sel:DWORD
	v_fma_f16 v1, v25, v6, v1
	v_fma_f16 v0, v25, v0, -v4
	v_pack_b32_f16 v0, v1, v0
	ds_write_b32 v37, v0 offset:3388
.LBB0_3:
	s_or_b64 exec, exec, s[14:15]
	s_waitcnt lgkmcnt(0)
	; wave barrier
	s_waitcnt lgkmcnt(0)
	ds_read2_b32 v[4:5], v37 offset1:98
	ds_read2_b32 v[8:9], v2 offset0:68 offset1:166
	ds_read2_b32 v[6:7], v3 offset0:136 offset1:234
	;; [unrolled: 1-line block ×3, first 2 shown]
	ds_read_b32 v20, v37 offset:3136
	s_load_dwordx2 s[4:5], s[4:5], 0x8
	v_mov_b32_e32 v1, 0
	v_mov_b32_e32 v17, 0
	;; [unrolled: 1-line block ×4, first 2 shown]
                                        ; implicit-def: $vgpr16
                                        ; implicit-def: $vgpr21
	s_and_saveexec_b64 s[0:1], vcc
	s_cbranch_execz .LBB0_5
; %bb.4:
	v_add_u32_e32 v2, 0x600, v37
	v_add_u32_e32 v15, 0x800, v37
	;; [unrolled: 1-line block ×3, first 2 shown]
	ds_read2_b32 v[0:1], v37 offset0:63 offset1:161
	ds_read2_b32 v[2:3], v2 offset0:71 offset1:169
	;; [unrolled: 1-line block ×3, first 2 shown]
	ds_read_b32 v21, v37 offset:3388
	ds_read2_b32 v[17:18], v17 offset0:3 offset1:101
.LBB0_5:
	s_or_b64 exec, exec, s[0:1]
	s_waitcnt lgkmcnt(0)
	v_pk_add_f16 v22, v5, v20
	v_pk_add_f16 v23, v8, v11
	v_lshrrev_b32_e32 v25, 16, v22
	s_movk_i32 s0, 0x3a21
	v_lshrrev_b32_e32 v26, 16, v4
	v_fma_f16 v27, v25, s0, v26
	v_lshrrev_b32_e32 v28, 16, v23
	s_movk_i32 s1, 0x318f
	v_fma_f16 v27, v28, s1, v27
	v_fma_f16 v26, v28, s0, v26
	v_pk_add_f16 v28, v21, v1
	v_pk_add_f16 v30, v16, v17
	v_alignbit_b32 v31, v17, v1, 16
	v_alignbit_b32 v32, v16, v21, 16
	;; [unrolled: 1-line block ×4, first 2 shown]
	v_fma_f16 v19, v22, s0, v4
	v_pk_add_f16 v31, v31, v32 neg_lo:[0,1] neg_hi:[0,1]
	v_pk_add_f16 v17, v1, v16 neg_lo:[0,1] neg_hi:[0,1]
	;; [unrolled: 1-line block ×3, first 2 shown]
	s_movk_i32 s12, 0x3aee
	s_mov_b32 s13, 0x3be13924
	v_fma_f16 v29, v23, s1, v19
	v_pk_add_f16 v19, v15, v18
	v_pk_mul_f16 v18, v1, s12 op_sel_hi:[1,0]
	v_pk_mul_f16 v1, v31, s13
	s_mov_b32 s13, 0x39243be1
	v_pk_fma_f16 v1, v17, s13, v1
	v_pk_add_f16 v21, v2, v3 neg_lo:[0,1] neg_hi:[0,1]
	s_movk_i32 s13, 0x3579
	v_pk_add_f16 v1, v1, v18 op_sel:[0,1] op_sel_hi:[1,0]
	v_pk_mul_f16 v15, v21, s13 op_sel_hi:[1,0]
	v_pk_add_f16 v32, v1, v15 op_sel:[0,1] op_sel_hi:[1,0]
	v_pk_fma_f16 v1, v28, s0, v0 op_sel_hi:[1,0,1]
	v_pk_fma_f16 v1, v30, s1, v1 op_sel_hi:[1,0,1]
	v_pk_fma_f16 v1, v19, 0.5, v1 op_sel_hi:[1,0,1] neg_lo:[1,0,0] neg_hi:[1,0,0]
	v_pk_add_f16 v33, v3, v2
	s_movk_i32 s15, 0x3b84
	v_pk_fma_f16 v34, v33, s15, v1 op_sel_hi:[1,0,1] neg_lo:[1,0,0] neg_hi:[1,0,0]
	v_pk_add_f16 v20, v5, v20 neg_lo:[0,1] neg_hi:[0,1]
	v_pk_add_f16 v1, v34, v32 neg_lo:[0,1] neg_hi:[0,1]
	s_movk_i32 s16, 0x3be1
	v_pk_add_f16 v36, v8, v11 neg_lo:[0,1] neg_hi:[0,1]
	v_pk_add_f16 v5, v9, v10 neg_lo:[0,1] neg_hi:[0,1]
	v_mul_f16_e32 v8, 0x3924, v20
	v_pk_add_f16 v24, v9, v10
	v_lshrrev_b32_e32 v15, 16, v32
	v_lshrrev_b32_e32 v16, 16, v1
	v_pk_mul_f16 v9, v5, s12 op_sel_hi:[1,0]
	v_lshrrev_b32_e32 v10, 16, v20
	v_fma_f16 v8, v36, s16, v8
	v_fma_f16 v48, v15, 2.0, v16
	v_mul_lo_u16_e32 v16, 9, v46
	v_pk_add_f16 v35, v23, v22
	v_mul_f16_e32 v11, 0x3924, v10
	v_lshrrev_b32_e32 v50, 16, v36
	v_add_f16_e32 v8, v9, v8
	v_pk_add_f16 v55, v6, v7 neg_lo:[0,1] neg_hi:[0,1]
	v_pk_mul_f16 v53, v24, 0.5 op_sel_hi:[1,0]
	v_lshlrev_b32_e32 v49, 2, v16
	v_pk_add_f16 v16, v24, v35
	v_fma_f16 v11, v50, s16, v11
	v_fma_f16 v52, v55, s13, v8
	v_sub_f16_e32 v8, v29, v53
	v_pk_add_f16 v29, v6, v7
	s_mov_b32 s14, 0xbb84
	v_pk_add_f16 v16, v6, v16
	v_add_f16_sdwa v11, v9, v11 dst_sel:DWORD dst_unused:UNUSED_PAD src0_sel:WORD_1 src1_sel:DWORD
	v_lshrrev_b32_e32 v51, 16, v55
	v_sub_f16_sdwa v27, v27, v53 dst_sel:DWORD dst_unused:UNUSED_PAD src0_sel:DWORD src1_sel:WORD_1
	v_lshrrev_b32_e32 v54, 16, v29
	v_pk_add_f16 v16, v7, v16
	v_fma_f16 v11, v51, s13, v11
	v_fma_f16 v6, v29, s14, v8
	;; [unrolled: 1-line block ×3, first 2 shown]
	v_add_f16_e32 v27, v11, v6
	v_sub_f16_e32 v56, v7, v52
	v_pk_add_f16 v16, v16, v4
	v_pack_b32_f16 v6, v27, v56
	s_waitcnt lgkmcnt(0)
	; wave barrier
	ds_write2_b32 v49, v16, v6 offset1:1
	v_pk_add_f16 v6, v28, v30
	v_pk_add_f16 v15, v0, v19
	;; [unrolled: 1-line block ×3, first 2 shown]
	v_lshrrev_b32_e32 v7, 16, v15
	v_fma_f16 v15, v8, -0.5, v15
	v_lshrrev_b32_e32 v8, 16, v8
	s_mov_b32 s17, 0xb924
	v_fma_f16 v57, v8, -0.5, v7
	v_mul_f16_sdwa v7, v21, s17 dst_sel:DWORD dst_unused:UNUSED_PAD src0_sel:WORD_1 src1_sel:DWORD
	v_add_f16_sdwa v8, v31, v21 dst_sel:DWORD dst_unused:UNUSED_PAD src0_sel:DWORD src1_sel:WORD_1
	v_fma_f16 v7, v31, s16, v7
	v_sub_f16_e32 v59, v8, v17
	v_sub_f16_sdwa v7, v7, v18 dst_sel:DWORD dst_unused:UNUSED_PAD src0_sel:DWORD src1_sel:WORD_1
	v_fma_f16 v8, v59, s12, v15
	v_mul_f16_e32 v15, 0x3aee, v59
	v_mul_f16_e32 v59, 0xb924, v21
	v_lshrrev_b32_e32 v60, 16, v17
	v_fma_f16 v16, v17, s13, v7
	v_fma_f16 v7, v33, s0, v0
	;; [unrolled: 1-line block ×3, first 2 shown]
	v_add_f16_e32 v62, v60, v21
	v_mul_f16_e32 v63, 0x3be1, v21
	v_mul_f16_sdwa v21, v21, s16 dst_sel:DWORD dst_unused:UNUSED_PAD src0_sel:WORD_1 src1_sel:DWORD
	v_fma_f16 v27, v11, -2.0, v27
	v_pk_mul_f16 v11, v55, s17 op_sel_hi:[1,0]
	v_fma_f16 v7, v28, s1, v7
	v_pk_mul_f16 v58, v19, 0.5 op_sel_hi:[1,0]
	v_sub_f16_e32 v59, v59, v18
	v_lshrrev_b32_e32 v61, 16, v31
	v_fma_f16 v17, v17, s17, -v21
	v_pk_fma_f16 v11, v20, s16, v11 op_sel_hi:[1,0,1]
	v_sub_f16_e32 v7, v7, v58
	v_fma_f16 v59, v61, s13, v59
	v_sub_f16_e32 v62, v62, v61
	v_fma_f16 v61, v61, s17, -v63
	v_add_f16_sdwa v17, v18, v17 dst_sel:DWORD dst_unused:UNUSED_PAD src0_sel:WORD_1 src1_sel:DWORD
	v_pk_fma_f16 v5, v5, s12, v11 op_sel_hi:[1,0,1] neg_lo:[1,0,0] neg_hi:[1,0,0]
	v_pk_fma_f16 v11, v29, s0, v4 op_sel_hi:[1,0,1]
	v_fma_f16 v7, v30, s14, v7
	v_add_f16_e32 v21, v18, v61
	v_fma_f16 v31, v31, s13, v17
	v_lshrrev_b32_e32 v17, 16, v33
	v_lshrrev_b32_e32 v18, 16, v0
	;; [unrolled: 1-line block ×3, first 2 shown]
	v_fma_f16 v30, v30, s0, v0
	v_pk_fma_f16 v11, v22, s1, v11 op_sel_hi:[1,0,1]
	v_fma_f16 v21, v60, s13, v21
	v_fma_f16 v60, v17, s0, v18
	;; [unrolled: 1-line block ×4, first 2 shown]
	v_pk_fma_f16 v11, v24, 0.5, v11 op_sel_hi:[1,0,1] neg_lo:[1,0,0] neg_hi:[1,0,0]
	v_fma_f16 v17, v17, s1, v18
	v_sub_f16_e32 v18, v30, v58
	v_pk_fma_f16 v5, v36, s13, v5 op_sel_hi:[1,0,1]
	v_pk_fma_f16 v11, v23, s15, v11 op_sel_hi:[1,0,1] neg_lo:[1,0,0] neg_hi:[1,0,0]
	v_lshrrev_b32_e32 v61, 16, v28
	v_fma_f16 v28, v28, s14, v18
	v_pk_add_f16 v18, v11, v5 op_sel:[0,1] op_sel_hi:[1,0]
	v_pk_add_f16 v11, v11, v5 op_sel:[0,1] op_sel_hi:[1,0] neg_lo:[0,1] neg_hi:[0,1]
	s_mov_b32 s15, 0xffff
	v_fma_f16 v60, v61, s1, v60
	v_fma_f16 v30, v52, 2.0, v56
	v_bfi_b32 v56, s15, v18, v11
	v_lshrrev_b32_e32 v11, 16, v11
	v_sub_f16_sdwa v60, v60, v58 dst_sel:DWORD dst_unused:UNUSED_PAD src0_sel:DWORD src1_sel:WORD_1
	v_sub_f16_sdwa v17, v17, v58 dst_sel:DWORD dst_unused:UNUSED_PAD src0_sel:DWORD src1_sel:WORD_1
	v_lshrrev_b32_e32 v33, 16, v5
	v_fma_f16 v58, v5, 2.0, v11
	v_mul_f16_e32 v5, 0x3be1, v51
	v_fma_f16 v5, v50, s17, -v5
	v_mul_f16_e32 v11, 0x3be1, v55
	v_fma_f16 v11, v36, s17, -v11
	v_add_f16_sdwa v5, v9, v5 dst_sel:DWORD dst_unused:UNUSED_PAD src0_sel:WORD_1 src1_sel:DWORD
	v_fma_f16 v17, v61, s14, v17
	v_add_f16_e32 v50, v9, v11
	v_fma_f16 v61, v10, s13, v5
	v_fma_f16 v5, v54, s1, v26
	;; [unrolled: 1-line block ×4, first 2 shown]
	v_sub_f16_sdwa v26, v5, v53 dst_sel:DWORD dst_unused:UNUSED_PAD src0_sel:DWORD src1_sel:WORD_1
	v_add_co_u32_e64 v5, s[0:1], 63, v46
	s_mov_b32 s0, 0xbaee
	v_sub_f16_e32 v17, v17, v21
	v_fma_f16 v11, v62, s0, v57
	v_mul_f16_e32 v10, 0x3aee, v62
	v_fma_f16 v51, v21, 2.0, v17
	v_fma_f16 v21, v20, s13, v50
	v_pk_add_f16 v20, v55, v20
	v_sub_f16_e32 v23, v9, v53
	v_fma_f16 v52, v10, 2.0, v11
	v_add_f16_e32 v10, v28, v31
	v_pk_add_f16 v4, v24, v4
	v_pk_add_f16 v20, v20, v36 neg_lo:[0,1] neg_hi:[0,1]
	v_pk_add_f16 v28, v29, v35
	v_fma_f16 v23, v22, s14, v23
	v_fma_f16 v25, v25, s14, v26
	v_pk_mul_f16 v20, v20, s12 op_sel_hi:[1,0]
	v_pk_fma_f16 v4, v28, 0.5, v4 op_sel_hi:[1,0,1] neg_lo:[1,0,0] neg_hi:[1,0,0]
	v_add_f16_e32 v23, v61, v23
	v_sub_f16_e32 v25, v25, v21
	v_pk_add_f16 v28, v4, v20 op_sel:[0,1] op_sel_hi:[1,0]
	v_pk_add_f16 v4, v4, v20 op_sel:[0,1] op_sel_hi:[1,0] neg_lo:[0,1] neg_hi:[0,1]
	v_fma_f16 v26, v61, -2.0, v23
	v_fma_f16 v21, v21, 2.0, v25
	v_lshrrev_b32_e32 v24, 16, v20
	v_bfi_b32 v29, s15, v28, v4
	v_lshrrev_b32_e32 v4, 16, v4
	v_fma_f16 v60, v63, s14, v60
	v_fma_f16 v33, v33, -2.0, v18
	v_fma_f16 v24, v24, -2.0, v28
	v_fma_f16 v4, v20, 2.0, v4
	v_pack_b32_f16 v20, v23, v25
	v_pack_b32_f16 v21, v26, v21
	v_add_f16_e32 v7, v16, v7
	v_pk_add_f16 v18, v34, v32
	v_sub_f16_e32 v9, v60, v59
	ds_write2_b32 v49, v20, v21 offset0:4 offset1:5
	v_pack_b32_f16 v4, v24, v4
	v_pack_b32_f16 v20, v33, v58
	v_fma_f16 v16, v16, -2.0, v7
	v_fma_f16 v15, v15, -2.0, v8
	;; [unrolled: 1-line block ×3, first 2 shown]
	v_fma_f16 v53, v59, 2.0, v9
	v_fma_f16 v22, v31, -2.0, v10
	ds_write2_b32 v49, v4, v20 offset0:6 offset1:7
	v_pack_b32_f16 v4, v27, v30
	v_mul_u32_u24_e32 v50, 9, v5
	ds_write2_b32 v49, v56, v29 offset0:2 offset1:3
	ds_write_b32 v49, v4 offset:32
	s_and_saveexec_b64 s[0:1], vcc
	s_cbranch_execz .LBB0_7
; %bb.6:
	v_pk_add_f16 v6, v6, v19
	v_pk_add_f16 v2, v6, v2
	;; [unrolled: 1-line block ×3, first 2 shown]
	v_bfi_b32 v1, s15, v18, v1
	v_lshlrev_b32_e32 v4, 2, v50
	v_pk_add_f16 v0, v0, v2
	s_mov_b32 s12, 0x5040100
	ds_write2_b32 v4, v0, v1 offset1:1
	v_perm_b32 v0, v11, v8, s12
	v_perm_b32 v1, v9, v7, s12
	ds_write2_b32 v4, v1, v0 offset0:2 offset1:3
	v_perm_b32 v0, v51, v22, s12
	v_perm_b32 v1, v17, v10, s12
	ds_write2_b32 v4, v1, v0 offset0:4 offset1:5
	;; [unrolled: 3-line block ×3, first 2 shown]
	v_perm_b32 v0, v48, v54, s12
	ds_write_b32 v4, v0 offset:32
.LBB0_7:
	s_or_b64 exec, exec, s[0:1]
	v_mov_b32_e32 v4, 57
	v_mul_lo_u16_sdwa v0, v46, v4 dst_sel:DWORD dst_unused:UNUSED_PAD src0_sel:BYTE_0 src1_sel:DWORD
	v_mul_lo_u16_sdwa v4, v5, v4 dst_sel:DWORD dst_unused:UNUSED_PAD src0_sel:BYTE_0 src1_sel:DWORD
	v_lshrrev_b16_e32 v21, 9, v0
	v_lshrrev_b16_e32 v57, 9, v4
	v_mul_lo_u16_e32 v0, 9, v21
	v_mul_lo_u16_e32 v4, 9, v57
	v_sub_u16_e32 v0, v46, v0
	v_sub_u16_e32 v4, v5, v4
	v_and_b32_e32 v36, 0xff, v0
	v_and_b32_e32 v58, 0xff, v4
	v_mul_u32_u24_e32 v0, 6, v36
	v_mul_u32_u24_e32 v4, 6, v58
	v_lshlrev_b32_e32 v6, 2, v0
	v_lshlrev_b32_e32 v8, 2, v4
	s_waitcnt lgkmcnt(0)
	; wave barrier
	s_waitcnt lgkmcnt(0)
	global_load_dwordx4 v[0:3], v6, s[4:5]
	global_load_dwordx2 v[19:20], v6, s[4:5] offset:16
	s_nop 0
	global_load_dwordx4 v[4:7], v8, s[4:5]
	global_load_dwordx2 v[17:18], v8, s[4:5] offset:16
	v_add_u32_e32 v31, 0x200, v37
	ds_read2_b32 v[8:9], v37 offset1:63
	ds_read2_b32 v[10:11], v37 offset0:126 offset1:189
	v_add_u32_e32 v32, 0x400, v37
	v_add_u32_e32 v29, 0x600, v37
	v_add_u32_e32 v35, 0x800, v37
	v_add_u32_e32 v30, 0xa00, v37
	ds_read2_b32 v[23:24], v31 offset0:124 offset1:187
	ds_read2_b32 v[25:26], v32 offset0:122 offset1:185
	;; [unrolled: 1-line block ×5, first 2 shown]
	s_waitcnt lgkmcnt(5)
	v_lshrrev_b32_e32 v59, 16, v10
	s_waitcnt lgkmcnt(4)
	v_lshrrev_b32_e32 v61, 16, v23
	;; [unrolled: 2-line block ×5, first 2 shown]
	v_lshrrev_b32_e32 v70, 16, v56
	v_lshrrev_b32_e32 v63, 16, v27
	;; [unrolled: 1-line block ×5, first 2 shown]
	s_movk_i32 s1, 0x2b26
	s_movk_i32 s0, 0x3b00
	s_mov_b32 s12, 0xbcab
	s_movk_i32 s13, 0x39e0
	s_mov_b32 s15, 0xb9e0
	;; [unrolled: 2-line block ×3, first 2 shown]
	v_lshrrev_b32_e32 v67, 16, v26
	v_lshrrev_b32_e32 v68, 16, v28
	s_movk_i32 s14, 0x370e
	v_mul_u32_u24_e32 v21, 63, v21
	s_waitcnt lgkmcnt(0)
	; wave barrier
	s_waitcnt vmcnt(3)
	v_mul_f16_sdwa v71, v59, v0 dst_sel:DWORD dst_unused:UNUSED_PAD src0_sel:DWORD src1_sel:WORD_1
	v_mul_f16_sdwa v72, v10, v0 dst_sel:DWORD dst_unused:UNUSED_PAD src0_sel:DWORD src1_sel:WORD_1
	v_mul_f16_sdwa v73, v61, v1 dst_sel:DWORD dst_unused:UNUSED_PAD src0_sel:DWORD src1_sel:WORD_1
	v_mul_f16_sdwa v74, v23, v1 dst_sel:DWORD dst_unused:UNUSED_PAD src0_sel:DWORD src1_sel:WORD_1
	s_waitcnt vmcnt(2)
	v_mul_f16_sdwa v79, v64, v19 dst_sel:DWORD dst_unused:UNUSED_PAD src0_sel:DWORD src1_sel:WORD_1
	v_mul_f16_sdwa v80, v33, v19 dst_sel:DWORD dst_unused:UNUSED_PAD src0_sel:DWORD src1_sel:WORD_1
	v_mul_f16_sdwa v81, v65, v20 dst_sel:DWORD dst_unused:UNUSED_PAD src0_sel:DWORD src1_sel:WORD_1
	v_mul_f16_sdwa v82, v55, v20 dst_sel:DWORD dst_unused:UNUSED_PAD src0_sel:DWORD src1_sel:WORD_1
	;; [unrolled: 5-line block ×3, first 2 shown]
	v_mul_f16_sdwa v78, v27, v3 dst_sel:DWORD dst_unused:UNUSED_PAD src0_sel:DWORD src1_sel:WORD_1
	v_fma_f16 v59, v59, v0, v72
	v_fma_f16 v61, v61, v1, v74
	v_fma_f16 v10, v10, v0, -v71
	v_fma_f16 v23, v23, v1, -v73
	;; [unrolled: 1-line block ×3, first 2 shown]
	v_fma_f16 v64, v64, v19, v80
	v_fma_f16 v55, v55, v20, -v81
	v_fma_f16 v65, v65, v20, v82
	v_fma_f16 v71, v56, v18, -v93
	v_mul_f16_sdwa v56, v56, v18 dst_sel:DWORD dst_unused:UNUSED_PAD src0_sel:DWORD src1_sel:WORD_1
	v_fma_f16 v62, v62, v2, v76
	v_fma_f16 v25, v25, v2, -v75
	v_fma_f16 v27, v27, v3, -v77
	v_fma_f16 v63, v63, v3, v78
	v_fma_f16 v56, v70, v18, v56
	v_add_f16_e32 v70, v10, v55
	v_add_f16_e32 v72, v59, v65
	v_sub_f16_e32 v10, v10, v55
	v_sub_f16_e32 v55, v59, v65
	v_add_f16_e32 v59, v23, v33
	v_add_f16_e32 v65, v61, v64
	v_sub_f16_e32 v23, v23, v33
	v_sub_f16_e32 v33, v61, v64
	;; [unrolled: 4-line block ×4, first 2 shown]
	v_sub_f16_e32 v70, v70, v61
	v_sub_f16_e32 v72, v72, v64
	;; [unrolled: 1-line block ×4, first 2 shown]
	v_add_f16_e32 v75, v25, v23
	v_add_f16_e32 v76, v27, v33
	v_sub_f16_e32 v77, v25, v23
	v_sub_f16_e32 v78, v27, v33
	;; [unrolled: 1-line block ×3, first 2 shown]
	v_add_f16_e32 v61, v61, v62
	v_add_f16_e32 v62, v64, v63
	v_sub_f16_e32 v25, v10, v25
	v_sub_f16_e32 v27, v55, v27
	;; [unrolled: 1-line block ×3, first 2 shown]
	v_add_f16_e32 v10, v75, v10
	v_add_f16_e32 v55, v76, v55
	;; [unrolled: 1-line block ×3, first 2 shown]
	v_add_f16_sdwa v8, v8, v62 dst_sel:DWORD dst_unused:UNUSED_PAD src0_sel:WORD_1 src1_sel:DWORD
	v_mul_f16_e32 v64, 0x3a52, v70
	v_mul_f16_e32 v70, 0x3a52, v72
	;; [unrolled: 1-line block ×7, first 2 shown]
	v_mul_f16_sdwa v83, v60, v4 dst_sel:DWORD dst_unused:UNUSED_PAD src0_sel:DWORD src1_sel:WORD_1
	v_mul_f16_sdwa v84, v11, v4 dst_sel:DWORD dst_unused:UNUSED_PAD src0_sel:DWORD src1_sel:WORD_1
	;; [unrolled: 1-line block ×4, first 2 shown]
	v_mul_f16_e32 v79, 0x3b00, v33
	v_fma_f16 v61, v61, s12, v63
	v_fma_f16 v62, v62, s12, v8
	;; [unrolled: 1-line block ×4, first 2 shown]
	v_fma_f16 v72, v73, s13, -v72
	v_fma_f16 v75, v74, s13, -v75
	;; [unrolled: 1-line block ×4, first 2 shown]
	v_fma_f16 v73, v25, s16, v76
	v_fma_f16 v23, v23, s0, -v76
	v_fma_f16 v25, v25, s17, -v78
	v_mul_f16_sdwa v86, v24, v5 dst_sel:DWORD dst_unused:UNUSED_PAD src0_sel:DWORD src1_sel:WORD_1
	v_mul_f16_sdwa v87, v67, v6 dst_sel:DWORD dst_unused:UNUSED_PAD src0_sel:DWORD src1_sel:WORD_1
	v_mul_f16_sdwa v88, v26, v6 dst_sel:DWORD dst_unused:UNUSED_PAD src0_sel:DWORD src1_sel:WORD_1
	v_mul_f16_sdwa v89, v68, v7 dst_sel:DWORD dst_unused:UNUSED_PAD src0_sel:DWORD src1_sel:WORD_1
	v_mul_f16_sdwa v90, v28, v7 dst_sel:DWORD dst_unused:UNUSED_PAD src0_sel:DWORD src1_sel:WORD_1
	v_mul_f16_sdwa v92, v34, v17 dst_sel:DWORD dst_unused:UNUSED_PAD src0_sel:DWORD src1_sel:WORD_1
	v_fma_f16 v11, v11, v4, -v83
	v_fma_f16 v60, v60, v4, v84
	v_fma_f16 v24, v24, v5, -v85
	v_fma_f16 v34, v34, v17, -v91
	v_fma_f16 v74, v27, s16, v77
	v_fma_f16 v33, v33, s0, -v77
	v_fma_f16 v27, v27, s17, -v79
	v_add_f16_e32 v59, v59, v61
	v_add_f16_e32 v65, v65, v62
	;; [unrolled: 1-line block ×6, first 2 shown]
	v_fma_f16 v64, v10, s14, v73
	v_fma_f16 v23, v10, s14, v23
	;; [unrolled: 1-line block ×4, first 2 shown]
	v_fma_f16 v26, v26, v6, -v87
	v_fma_f16 v67, v67, v6, v88
	v_fma_f16 v28, v28, v7, -v89
	v_fma_f16 v68, v68, v7, v90
	v_fma_f16 v69, v69, v17, v92
	;; [unrolled: 1-line block ×5, first 2 shown]
	v_sub_f16_e32 v76, v62, v10
	v_add_f16_e32 v10, v10, v62
	v_add_f16_e32 v55, v11, v71
	;; [unrolled: 1-line block ×3, first 2 shown]
	v_sub_f16_e32 v56, v60, v56
	v_add_f16_e32 v60, v24, v34
	v_sub_f16_e32 v73, v65, v64
	v_add_f16_e32 v74, v25, v61
	v_sub_f16_e32 v25, v61, v25
	v_add_f16_e32 v61, v64, v65
	v_sub_f16_e32 v11, v11, v71
	v_add_f16_e32 v64, v66, v69
	v_sub_f16_e32 v24, v24, v34
	v_sub_f16_e32 v34, v66, v69
	v_add_f16_e32 v65, v26, v28
	v_add_f16_e32 v66, v67, v68
	v_sub_f16_e32 v26, v28, v26
	v_sub_f16_e32 v28, v68, v67
	v_add_f16_e32 v67, v60, v55
	v_add_f16_e32 v27, v70, v59
	v_sub_f16_e32 v77, v72, v33
	v_add_f16_e32 v78, v23, v75
	v_add_f16_e32 v33, v33, v72
	v_sub_f16_e32 v23, v75, v23
	v_sub_f16_e32 v59, v59, v70
	v_add_f16_e32 v68, v64, v62
	v_sub_f16_e32 v69, v60, v55
	v_sub_f16_e32 v70, v64, v62
	;; [unrolled: 1-line block ×6, first 2 shown]
	v_add_f16_e32 v71, v26, v24
	v_add_f16_e32 v72, v28, v34
	v_sub_f16_e32 v75, v26, v24
	v_sub_f16_e32 v79, v28, v34
	;; [unrolled: 1-line block ×4, first 2 shown]
	v_add_f16_e32 v65, v65, v67
	v_sub_f16_e32 v26, v11, v26
	v_sub_f16_e32 v28, v56, v28
	v_add_f16_e32 v66, v66, v68
	v_add_f16_e32 v11, v71, v11
	;; [unrolled: 1-line block ×4, first 2 shown]
	v_mul_f16_e32 v55, 0x3a52, v55
	v_mul_f16_e32 v62, 0x3a52, v62
	;; [unrolled: 1-line block ×8, first 2 shown]
	v_add_f16_sdwa v9, v9, v66 dst_sel:DWORD dst_unused:UNUSED_PAD src0_sel:WORD_1 src1_sel:DWORD
	v_fma_f16 v65, v65, s12, v67
	v_fma_f16 v60, v60, s1, v55
	;; [unrolled: 1-line block ×3, first 2 shown]
	v_fma_f16 v68, v69, s13, -v68
	v_fma_f16 v71, v70, s13, -v71
	;; [unrolled: 1-line block ×4, first 2 shown]
	v_fma_f16 v69, v26, s16, v72
	v_fma_f16 v70, v28, s16, v75
	v_fma_f16 v24, v24, s0, -v72
	v_fma_f16 v26, v26, s17, -v79
	;; [unrolled: 1-line block ×3, first 2 shown]
	v_fma_f16 v66, v66, s12, v9
	v_add_f16_e32 v60, v60, v65
	v_add_f16_e32 v68, v68, v65
	;; [unrolled: 1-line block ×3, first 2 shown]
	v_fma_f16 v65, v11, s14, v69
	v_fma_f16 v24, v11, s14, v24
	;; [unrolled: 1-line block ×4, first 2 shown]
	v_add_f16_e32 v64, v64, v66
	v_add_f16_e32 v71, v71, v66
	;; [unrolled: 1-line block ×3, first 2 shown]
	v_fma_f16 v66, v56, s14, v70
	v_add_f16_e32 v70, v26, v55
	v_sub_f16_e32 v26, v55, v26
	v_add_lshl_u32 v55, v21, v36, 2
	v_pack_b32_f16 v8, v63, v8
	v_pack_b32_f16 v21, v27, v73
	ds_write2_b32 v55, v8, v21 offset1:9
	v_pack_b32_f16 v8, v74, v76
	v_pack_b32_f16 v21, v77, v78
	ds_write2_b32 v55, v8, v21 offset0:18 offset1:27
	v_pack_b32_f16 v8, v33, v23
	v_pack_b32_f16 v10, v25, v10
	v_fma_f16 v34, v34, s0, -v75
	ds_write2_b32 v55, v8, v10 offset0:36 offset1:45
	v_pack_b32_f16 v8, v59, v61
	v_fma_f16 v34, v56, s14, v34
	v_add_f16_e32 v28, v66, v60
	v_sub_f16_e32 v69, v64, v65
	ds_write_b32 v55, v8 offset:216
	v_mul_u32_u24_e32 v8, 63, v57
	v_sub_f16_e32 v72, v62, v11
	v_sub_f16_e32 v75, v68, v34
	v_add_f16_e32 v79, v24, v71
	v_add_lshl_u32 v56, v8, v58, 2
	v_pack_b32_f16 v8, v67, v9
	v_pack_b32_f16 v9, v28, v69
	v_add_f16_e32 v11, v11, v62
	ds_write2_b32 v56, v8, v9 offset1:9
	v_pack_b32_f16 v8, v70, v72
	v_pack_b32_f16 v9, v75, v79
	ds_write2_b32 v56, v8, v9 offset0:18 offset1:27
	v_pack_b32_f16 v9, v26, v11
	v_mad_u64_u32 v[25:26], s[4:5], v46, 24, s[4:5]
	v_add_f16_e32 v34, v34, v68
	v_sub_f16_e32 v24, v71, v24
	v_sub_f16_e32 v60, v60, v66
	v_add_f16_e32 v62, v65, v64
	v_pack_b32_f16 v8, v34, v24
	ds_write2_b32 v56, v8, v9 offset0:36 offset1:45
	v_pack_b32_f16 v8, v60, v62
	ds_write_b32 v56, v8 offset:216
	s_waitcnt lgkmcnt(0)
	; wave barrier
	s_waitcnt lgkmcnt(0)
	global_load_dwordx4 v[8:11], v[25:26], off offset:216
	global_load_dwordx2 v[23:24], v[25:26], off offset:232
	ds_read2_b32 v[27:28], v37 offset0:126 offset1:189
	ds_read2_b32 v[33:34], v37 offset1:63
	ds_read2_b32 v[57:58], v31 offset0:124 offset1:187
	ds_read2_b32 v[59:60], v32 offset0:122 offset1:185
	;; [unrolled: 1-line block ×5, first 2 shown]
	s_waitcnt lgkmcnt(4)
	v_lshrrev_b32_e32 v36, 16, v57
	s_waitcnt lgkmcnt(3)
	v_lshrrev_b32_e32 v67, 16, v59
	v_lshrrev_b32_e32 v21, 16, v27
	s_waitcnt lgkmcnt(2)
	v_lshrrev_b32_e32 v68, 16, v61
	s_waitcnt lgkmcnt(1)
	;; [unrolled: 2-line block ×3, first 2 shown]
	v_lshrrev_b32_e32 v70, 16, v65
	v_lshrrev_b32_e32 v71, 16, v28
	;; [unrolled: 1-line block ×7, first 2 shown]
	s_waitcnt lgkmcnt(0)
	; wave barrier
	s_waitcnt vmcnt(1)
	v_mul_f16_sdwa v77, v21, v8 dst_sel:DWORD dst_unused:UNUSED_PAD src0_sel:DWORD src1_sel:WORD_1
	v_fma_f16 v77, v27, v8, -v77
	v_mul_f16_sdwa v27, v27, v8 dst_sel:DWORD dst_unused:UNUSED_PAD src0_sel:DWORD src1_sel:WORD_1
	v_fma_f16 v21, v21, v8, v27
	v_mul_f16_sdwa v27, v36, v9 dst_sel:DWORD dst_unused:UNUSED_PAD src0_sel:DWORD src1_sel:WORD_1
	v_fma_f16 v27, v57, v9, -v27
	v_mul_f16_sdwa v57, v57, v9 dst_sel:DWORD dst_unused:UNUSED_PAD src0_sel:DWORD src1_sel:WORD_1
	v_fma_f16 v36, v36, v9, v57
	;; [unrolled: 4-line block ×4, first 2 shown]
	s_waitcnt vmcnt(0)
	v_mul_f16_sdwa v68, v69, v23 dst_sel:DWORD dst_unused:UNUSED_PAD src0_sel:DWORD src1_sel:WORD_1
	v_fma_f16 v68, v63, v23, -v68
	v_mul_f16_sdwa v63, v63, v23 dst_sel:DWORD dst_unused:UNUSED_PAD src0_sel:DWORD src1_sel:WORD_1
	v_fma_f16 v63, v69, v23, v63
	v_mul_f16_sdwa v69, v70, v24 dst_sel:DWORD dst_unused:UNUSED_PAD src0_sel:DWORD src1_sel:WORD_1
	v_fma_f16 v69, v65, v24, -v69
	v_mul_f16_sdwa v65, v65, v24 dst_sel:DWORD dst_unused:UNUSED_PAD src0_sel:DWORD src1_sel:WORD_1
	v_fma_f16 v65, v70, v24, v65
	;; [unrolled: 4-line block ×8, first 2 shown]
	v_add_f16_e32 v76, v77, v69
	v_add_f16_e32 v78, v21, v65
	v_sub_f16_e32 v69, v77, v69
	v_sub_f16_e32 v21, v21, v65
	v_add_f16_e32 v65, v27, v68
	v_add_f16_e32 v77, v36, v63
	v_sub_f16_e32 v27, v27, v68
	v_sub_f16_e32 v36, v36, v63
	;; [unrolled: 4-line block ×4, first 2 shown]
	v_sub_f16_e32 v76, v76, v63
	v_sub_f16_e32 v78, v78, v68
	;; [unrolled: 1-line block ×4, first 2 shown]
	v_add_f16_e32 v81, v57, v27
	v_add_f16_e32 v82, v59, v36
	v_sub_f16_e32 v83, v57, v27
	v_sub_f16_e32 v84, v59, v36
	;; [unrolled: 1-line block ×4, first 2 shown]
	v_add_f16_e32 v61, v63, v61
	v_add_f16_e32 v63, v68, v67
	v_sub_f16_e32 v57, v69, v57
	v_sub_f16_e32 v59, v21, v59
	v_add_f16_e32 v67, v81, v69
	v_add_f16_e32 v21, v82, v21
	;; [unrolled: 1-line block ×3, first 2 shown]
	v_add_f16_sdwa v33, v33, v63 dst_sel:DWORD dst_unused:UNUSED_PAD src0_sel:WORD_1 src1_sel:DWORD
	v_mul_f16_e32 v69, 0x3a52, v76
	v_mul_f16_e32 v76, 0x3a52, v78
	;; [unrolled: 1-line block ×8, first 2 shown]
	v_fma_f16 v61, v61, s12, v68
	v_fma_f16 v63, v63, s12, v33
	;; [unrolled: 1-line block ×4, first 2 shown]
	v_fma_f16 v78, v79, s13, -v78
	v_fma_f16 v81, v80, s13, -v81
	;; [unrolled: 1-line block ×4, first 2 shown]
	v_fma_f16 v79, v57, s16, v82
	v_fma_f16 v80, v59, s16, v83
	v_fma_f16 v36, v36, s0, -v83
	v_fma_f16 v57, v57, s17, -v84
	;; [unrolled: 1-line block ×4, first 2 shown]
	v_add_f16_e32 v65, v65, v61
	v_add_f16_e32 v77, v77, v63
	;; [unrolled: 1-line block ×6, first 2 shown]
	v_fma_f16 v69, v67, s14, v79
	v_fma_f16 v76, v21, s14, v80
	;; [unrolled: 1-line block ×6, first 2 shown]
	v_add_f16_e32 v59, v76, v65
	v_sub_f16_e32 v67, v77, v69
	v_add_f16_e32 v79, v21, v61
	v_sub_f16_e32 v80, v63, v57
	v_sub_f16_e32 v21, v61, v21
	v_add_f16_e32 v57, v57, v63
	v_sub_f16_e32 v61, v65, v76
	v_add_f16_e32 v63, v69, v77
	v_add_f16_e32 v65, v70, v75
	;; [unrolled: 1-line block ×3, first 2 shown]
	v_sub_f16_e32 v70, v70, v75
	v_sub_f16_e32 v28, v28, v66
	v_add_f16_e32 v66, v71, v74
	v_add_f16_e32 v75, v58, v64
	v_sub_f16_e32 v71, v71, v74
	v_sub_f16_e32 v58, v58, v64
	v_add_f16_e32 v64, v72, v73
	v_add_f16_e32 v74, v60, v62
	;; [unrolled: 4-line block ×3, first 2 shown]
	v_sub_f16_e32 v82, v78, v36
	v_add_f16_e32 v83, v27, v81
	v_add_f16_e32 v36, v36, v78
	v_sub_f16_e32 v27, v81, v27
	v_sub_f16_e32 v76, v66, v65
	v_sub_f16_e32 v77, v75, v69
	v_sub_f16_e32 v65, v65, v64
	v_sub_f16_e32 v69, v69, v74
	v_sub_f16_e32 v66, v64, v66
	v_sub_f16_e32 v75, v74, v75
	v_add_f16_e32 v78, v72, v71
	v_add_f16_e32 v81, v60, v58
	v_sub_f16_e32 v84, v72, v71
	v_sub_f16_e32 v85, v60, v58
	;; [unrolled: 1-line block ×4, first 2 shown]
	v_add_f16_e32 v62, v64, v62
	v_add_f16_e32 v64, v74, v73
	v_sub_f16_e32 v72, v70, v72
	v_sub_f16_e32 v60, v28, v60
	v_add_f16_e32 v70, v78, v70
	v_add_f16_e32 v28, v81, v28
	;; [unrolled: 1-line block ×3, first 2 shown]
	v_add_f16_sdwa v34, v34, v64 dst_sel:DWORD dst_unused:UNUSED_PAD src0_sel:WORD_1 src1_sel:DWORD
	v_mul_f16_e32 v65, 0x3a52, v65
	v_mul_f16_e32 v69, 0x3a52, v69
	;; [unrolled: 1-line block ×8, first 2 shown]
	v_fma_f16 v62, v62, s12, v73
	v_fma_f16 v64, v64, s12, v34
	;; [unrolled: 1-line block ×4, first 2 shown]
	v_fma_f16 v74, v76, s13, -v74
	v_fma_f16 v78, v77, s13, -v78
	;; [unrolled: 1-line block ×4, first 2 shown]
	v_fma_f16 v76, v72, s16, v81
	v_fma_f16 v77, v60, s16, v84
	v_fma_f16 v71, v71, s0, -v81
	v_fma_f16 v58, v58, s0, -v84
	;; [unrolled: 1-line block ×4, first 2 shown]
	v_add_f16_e32 v66, v66, v62
	v_add_f16_e32 v75, v75, v64
	;; [unrolled: 1-line block ×6, first 2 shown]
	v_fma_f16 v65, v70, s14, v76
	v_fma_f16 v69, v28, s14, v77
	;; [unrolled: 1-line block ×6, first 2 shown]
	v_pack_b32_f16 v27, v36, v27
	v_pack_b32_f16 v21, v21, v57
	v_add_f16_e32 v60, v69, v66
	v_sub_f16_e32 v72, v75, v65
	v_add_f16_e32 v76, v28, v62
	v_sub_f16_e32 v77, v64, v70
	ds_write2_b32 v31, v27, v21 offset0:124 offset1:187
	v_pack_b32_f16 v21, v61, v63
	v_pack_b32_f16 v27, v73, v34
	v_sub_f16_e32 v81, v74, v58
	v_add_f16_e32 v84, v71, v78
	v_add_f16_e32 v58, v58, v74
	v_sub_f16_e32 v71, v78, v71
	ds_write2_b32 v32, v21, v27 offset0:122 offset1:185
	v_pack_b32_f16 v21, v60, v72
	v_pack_b32_f16 v27, v76, v77
	v_sub_f16_e32 v28, v62, v28
	v_add_f16_e32 v62, v70, v64
	v_sub_f16_e32 v64, v66, v69
	v_add_f16_e32 v65, v65, v75
	ds_write2_b32 v29, v21, v27 offset0:120 offset1:183
	v_pack_b32_f16 v21, v81, v84
	v_pack_b32_f16 v27, v58, v71
	ds_write2_b32 v35, v21, v27 offset0:118 offset1:181
	v_pack_b32_f16 v21, v28, v62
	v_pack_b32_f16 v27, v64, v65
	ds_write2_b32 v30, v21, v27 offset0:116 offset1:179
	v_mul_i32_i24_e32 v27, 0xffffffec, v46
	v_pack_b32_f16 v33, v68, v33
	v_pack_b32_f16 v59, v59, v67
	v_mul_hi_i32_i24_e32 v21, 0xffffffec, v46
	v_add_co_u32_e64 v25, s[0:1], v25, v27
	ds_write2_b32 v37, v33, v59 offset1:63
	v_pack_b32_f16 v33, v79, v80
	v_pack_b32_f16 v59, v82, v83
	v_addc_co_u32_e64 v26, s[0:1], v26, v21, s[0:1]
	ds_write2_b32 v37, v33, v59 offset0:126 offset1:189
	s_waitcnt lgkmcnt(0)
	; wave barrier
	s_waitcnt lgkmcnt(0)
	global_load_dword v57, v[25:26], off offset:1728
	global_load_dword v58, v[25:26], off offset:1980
	;; [unrolled: 1-line block ×7, first 2 shown]
	ds_read2_b32 v[25:26], v37 offset1:63
	ds_read2_b32 v[33:34], v32 offset0:122 offset1:185
	ds_read2_b32 v[27:28], v29 offset0:120 offset1:183
	;; [unrolled: 1-line block ×6, first 2 shown]
	s_waitcnt lgkmcnt(5)
	v_lshrrev_b32_e32 v36, 16, v34
	s_waitcnt lgkmcnt(4)
	v_lshrrev_b32_e32 v73, 16, v27
	v_lshrrev_b32_e32 v75, 16, v28
	s_waitcnt lgkmcnt(2)
	v_lshrrev_b32_e32 v77, 16, v66
	;; [unrolled: 3-line block ×3, first 2 shown]
	v_lshrrev_b32_e32 v83, 16, v71
	v_lshrrev_b32_e32 v21, 16, v25
	;; [unrolled: 1-line block ×8, first 2 shown]
	s_add_u32 s0, s2, 0xdc8
	s_addc_u32 s1, s3, 0
	s_waitcnt vmcnt(6)
	v_mul_f16_sdwa v84, v36, v57 dst_sel:DWORD dst_unused:UNUSED_PAD src0_sel:DWORD src1_sel:WORD_1
	v_fma_f16 v84, v34, v57, -v84
	v_mul_f16_sdwa v34, v34, v57 dst_sel:DWORD dst_unused:UNUSED_PAD src0_sel:DWORD src1_sel:WORD_1
	v_fma_f16 v34, v36, v57, v34
	s_waitcnt vmcnt(5)
	v_mul_f16_sdwa v36, v73, v58 dst_sel:DWORD dst_unused:UNUSED_PAD src0_sel:DWORD src1_sel:WORD_1
	v_fma_f16 v36, v27, v58, -v36
	v_mul_f16_sdwa v27, v27, v58 dst_sel:DWORD dst_unused:UNUSED_PAD src0_sel:DWORD src1_sel:WORD_1
	v_fma_f16 v27, v73, v58, v27
	;; [unrolled: 5-line block ×7, first 2 shown]
	v_sub_f16_e32 v83, v25, v84
	v_sub_f16_e32 v34, v21, v34
	;; [unrolled: 1-line block ×4, first 2 shown]
	v_fma_f16 v84, v25, 2.0, -v83
	v_fma_f16 v85, v21, 2.0, -v34
	;; [unrolled: 1-line block ×4, first 2 shown]
	v_sub_f16_e32 v27, v69, v79
	v_sub_f16_e32 v21, v33, v81
	;; [unrolled: 1-line block ×6, first 2 shown]
	v_fma_f16 v26, v69, 2.0, -v27
	v_fma_f16 v28, v33, 2.0, -v21
	v_pack_b32_f16 v33, v84, v85
	v_pack_b32_f16 v69, v87, v72
	v_fma_f16 v89, v64, 2.0, -v73
	v_fma_f16 v74, v74, 2.0, -v88
	;; [unrolled: 1-line block ×4, first 2 shown]
	ds_write2_b32 v37, v33, v69 offset1:63
	v_pack_b32_f16 v33, v36, v86
	v_pack_b32_f16 v69, v73, v88
	v_sub_f16_e32 v25, v68, v77
	v_sub_f16_e32 v64, v78, v67
	;; [unrolled: 1-line block ×3, first 2 shown]
	v_pack_b32_f16 v36, v89, v74
	ds_write2_b32 v29, v33, v69 offset0:120 offset1:183
	v_pack_b32_f16 v33, v91, v76
	v_fma_f16 v77, v68, 2.0, -v25
	v_fma_f16 v78, v78, 2.0, -v64
	v_fma_f16 v65, v80, 2.0, -v66
	v_sub_f16_e32 v67, v82, v71
	ds_write2_b32 v37, v36, v33 offset0:126 offset1:189
	v_pack_b32_f16 v33, v75, v90
	v_pack_b32_f16 v69, v25, v64
	v_fma_f16 v68, v82, 2.0, -v67
	v_pack_b32_f16 v36, v77, v78
	ds_write2_b32 v35, v33, v69 offset0:118 offset1:181
	v_pack_b32_f16 v33, v26, v65
	v_pack_b32_f16 v34, v83, v34
	ds_write2_b32 v31, v36, v33 offset0:124 offset1:187
	v_pack_b32_f16 v36, v28, v68
	;; [unrolled: 3-line block ×3, first 2 shown]
	ds_write2_b32 v30, v33, v34 offset0:116 offset1:179
	s_waitcnt lgkmcnt(0)
	; wave barrier
	s_waitcnt lgkmcnt(0)
	global_load_dword v30, v[12:13], off offset:3528
	global_load_dword v36, v37, s[0:1] offset:392
	global_load_dword v69, v37, s[0:1] offset:784
	;; [unrolled: 1-line block ×8, first 2 shown]
	ds_read2_b32 v[33:34], v37 offset1:98
	s_waitcnt lgkmcnt(0)
	v_lshrrev_b32_e32 v70, 16, v33
	s_waitcnt vmcnt(8)
	v_mul_f16_sdwa v77, v70, v30 dst_sel:DWORD dst_unused:UNUSED_PAD src0_sel:DWORD src1_sel:WORD_1
	v_fma_f16 v77, v33, v30, -v77
	v_mul_f16_sdwa v33, v33, v30 dst_sel:DWORD dst_unused:UNUSED_PAD src0_sel:DWORD src1_sel:WORD_1
	v_fma_f16 v30, v70, v30, v33
	v_lshrrev_b32_e32 v33, 16, v34
	s_waitcnt vmcnt(7)
	v_mul_f16_sdwa v70, v33, v36 dst_sel:DWORD dst_unused:UNUSED_PAD src0_sel:DWORD src1_sel:WORD_1
	v_fma_f16 v70, v34, v36, -v70
	v_mul_f16_sdwa v34, v34, v36 dst_sel:DWORD dst_unused:UNUSED_PAD src0_sel:DWORD src1_sel:WORD_1
	v_fma_f16 v33, v33, v36, v34
	v_pack_b32_f16 v30, v77, v30
	v_pack_b32_f16 v33, v70, v33
	ds_write2_b32 v37, v30, v33 offset1:98
	ds_read2_b32 v[33:34], v31 offset0:68 offset1:166
	ds_read_b32 v36, v37 offset:3136
	s_waitcnt lgkmcnt(1)
	v_lshrrev_b32_e32 v30, 16, v33
	s_waitcnt vmcnt(6)
	v_mul_f16_sdwa v70, v30, v69 dst_sel:DWORD dst_unused:UNUSED_PAD src0_sel:DWORD src1_sel:WORD_1
	v_fma_f16 v70, v33, v69, -v70
	v_mul_f16_sdwa v33, v33, v69 dst_sel:DWORD dst_unused:UNUSED_PAD src0_sel:DWORD src1_sel:WORD_1
	v_fma_f16 v30, v30, v69, v33
	v_lshrrev_b32_e32 v33, 16, v34
	s_waitcnt vmcnt(5)
	v_mul_f16_sdwa v69, v33, v71 dst_sel:DWORD dst_unused:UNUSED_PAD src0_sel:DWORD src1_sel:WORD_1
	v_pack_b32_f16 v30, v70, v30
	v_fma_f16 v77, v34, v71, -v69
	ds_read2_b32 v[69:70], v32 offset0:136 offset1:234
	v_mul_f16_sdwa v34, v34, v71 dst_sel:DWORD dst_unused:UNUSED_PAD src0_sel:DWORD src1_sel:WORD_1
	v_fma_f16 v33, v33, v71, v34
	v_pack_b32_f16 v33, v77, v33
	ds_write2_b32 v31, v30, v33 offset0:68 offset1:166
	s_waitcnt lgkmcnt(1)
	v_lshrrev_b32_e32 v30, 16, v69
	s_waitcnt vmcnt(4)
	v_mul_f16_sdwa v33, v30, v72 dst_sel:DWORD dst_unused:UNUSED_PAD src0_sel:DWORD src1_sel:WORD_1
	v_mul_f16_sdwa v34, v69, v72 dst_sel:DWORD dst_unused:UNUSED_PAD src0_sel:DWORD src1_sel:WORD_1
	v_fma_f16 v33, v69, v72, -v33
	v_fma_f16 v30, v30, v72, v34
	v_lshrrev_b32_e32 v69, 16, v70
	v_pack_b32_f16 v30, v33, v30
	s_waitcnt vmcnt(3)
	v_mul_f16_sdwa v33, v69, v73 dst_sel:DWORD dst_unused:UNUSED_PAD src0_sel:DWORD src1_sel:WORD_1
	v_fma_f16 v71, v70, v73, -v33
	ds_read2_b32 v[33:34], v35 offset0:76 offset1:174
	v_mul_f16_sdwa v70, v70, v73 dst_sel:DWORD dst_unused:UNUSED_PAD src0_sel:DWORD src1_sel:WORD_1
	v_fma_f16 v69, v69, v73, v70
	v_pack_b32_f16 v69, v71, v69
	ds_write2_b32 v32, v30, v69 offset0:136 offset1:234
	s_waitcnt lgkmcnt(1)
	v_lshrrev_b32_e32 v30, 16, v33
	s_waitcnt vmcnt(2)
	v_mul_f16_sdwa v69, v30, v74 dst_sel:DWORD dst_unused:UNUSED_PAD src0_sel:DWORD src1_sel:WORD_1
	v_fma_f16 v69, v33, v74, -v69
	v_mul_f16_sdwa v33, v33, v74 dst_sel:DWORD dst_unused:UNUSED_PAD src0_sel:DWORD src1_sel:WORD_1
	v_fma_f16 v30, v30, v74, v33
	v_lshrrev_b32_e32 v33, 16, v34
	v_pack_b32_f16 v30, v69, v30
	s_waitcnt vmcnt(1)
	v_mul_f16_sdwa v69, v33, v75 dst_sel:DWORD dst_unused:UNUSED_PAD src0_sel:DWORD src1_sel:WORD_1
	v_fma_f16 v69, v34, v75, -v69
	v_mul_f16_sdwa v34, v34, v75 dst_sel:DWORD dst_unused:UNUSED_PAD src0_sel:DWORD src1_sel:WORD_1
	v_fma_f16 v33, v33, v75, v34
	v_pack_b32_f16 v33, v69, v33
	ds_write2_b32 v35, v30, v33 offset0:76 offset1:174
	v_lshrrev_b32_e32 v30, 16, v36
	s_waitcnt vmcnt(0)
	v_mul_f16_sdwa v33, v30, v76 dst_sel:DWORD dst_unused:UNUSED_PAD src0_sel:DWORD src1_sel:WORD_1
	v_mul_f16_sdwa v34, v36, v76 dst_sel:DWORD dst_unused:UNUSED_PAD src0_sel:DWORD src1_sel:WORD_1
	v_fma_f16 v33, v36, v76, -v33
	v_fma_f16 v30, v30, v76, v34
	v_pack_b32_f16 v30, v33, v30
	ds_write_b32 v37, v30 offset:3136
	s_and_saveexec_b64 s[2:3], vcc
	s_cbranch_execz .LBB0_9
; %bb.8:
	v_mov_b32_e32 v30, s1
	v_add_co_u32_e64 v33, s[0:1], s0, v37
	v_addc_co_u32_e64 v34, s[0:1], 0, v30, s[0:1]
	global_load_dword v30, v[33:34], off offset:252
	global_load_dword v36, v[33:34], off offset:644
	;; [unrolled: 1-line block ×9, first 2 shown]
	ds_read2_b32 v[33:34], v37 offset0:63 offset1:161
	s_waitcnt lgkmcnt(0)
	v_lshrrev_b32_e32 v69, 16, v33
	v_lshrrev_b32_e32 v70, 16, v34
	s_waitcnt vmcnt(8)
	v_mul_f16_sdwa v71, v69, v30 dst_sel:DWORD dst_unused:UNUSED_PAD src0_sel:DWORD src1_sel:WORD_1
	v_mul_f16_sdwa v72, v33, v30 dst_sel:DWORD dst_unused:UNUSED_PAD src0_sel:DWORD src1_sel:WORD_1
	s_waitcnt vmcnt(7)
	v_mul_f16_sdwa v80, v70, v36 dst_sel:DWORD dst_unused:UNUSED_PAD src0_sel:DWORD src1_sel:WORD_1
	v_mul_f16_sdwa v81, v34, v36 dst_sel:DWORD dst_unused:UNUSED_PAD src0_sel:DWORD src1_sel:WORD_1
	v_fma_f16 v33, v33, v30, -v71
	v_fma_f16 v30, v69, v30, v72
	v_fma_f16 v34, v34, v36, -v80
	v_fma_f16 v36, v70, v36, v81
	v_pack_b32_f16 v30, v33, v30
	v_pack_b32_f16 v33, v34, v36
	ds_write2_b32 v37, v30, v33 offset0:63 offset1:161
	ds_read2_b32 v[33:34], v32 offset0:3 offset1:101
	ds_read2_b32 v[69:70], v29 offset0:71 offset1:169
	;; [unrolled: 1-line block ×3, first 2 shown]
	ds_read_b32 v30, v37 offset:3388
	s_waitcnt lgkmcnt(3)
	v_lshrrev_b32_e32 v36, 16, v33
	s_waitcnt vmcnt(6)
	v_mul_f16_sdwa v80, v33, v73 dst_sel:DWORD dst_unused:UNUSED_PAD src0_sel:DWORD src1_sel:WORD_1
	v_lshrrev_b32_e32 v81, 16, v34
	s_waitcnt vmcnt(5)
	v_mul_f16_sdwa v82, v34, v74 dst_sel:DWORD dst_unused:UNUSED_PAD src0_sel:DWORD src1_sel:WORD_1
	s_waitcnt lgkmcnt(2)
	v_lshrrev_b32_e32 v83, 16, v69
	s_waitcnt vmcnt(4)
	v_mul_f16_sdwa v84, v69, v75 dst_sel:DWORD dst_unused:UNUSED_PAD src0_sel:DWORD src1_sel:WORD_1
	v_lshrrev_b32_e32 v85, 16, v70
	s_waitcnt vmcnt(3)
	v_mul_f16_sdwa v86, v70, v76 dst_sel:DWORD dst_unused:UNUSED_PAD src0_sel:DWORD src1_sel:WORD_1
	;; [unrolled: 7-line block ×3, first 2 shown]
	s_waitcnt lgkmcnt(0)
	v_lshrrev_b32_e32 v91, 16, v30
	v_mul_f16_sdwa v93, v36, v73 dst_sel:DWORD dst_unused:UNUSED_PAD src0_sel:DWORD src1_sel:WORD_1
	v_fma_f16 v36, v36, v73, v80
	v_mul_f16_sdwa v80, v81, v74 dst_sel:DWORD dst_unused:UNUSED_PAD src0_sel:DWORD src1_sel:WORD_1
	s_waitcnt vmcnt(0)
	v_mul_f16_sdwa v92, v30, v79 dst_sel:DWORD dst_unused:UNUSED_PAD src0_sel:DWORD src1_sel:WORD_1
	v_fma_f16 v81, v81, v74, v82
	v_mul_f16_sdwa v82, v83, v75 dst_sel:DWORD dst_unused:UNUSED_PAD src0_sel:DWORD src1_sel:WORD_1
	v_fma_f16 v83, v83, v75, v84
	;; [unrolled: 2-line block ×5, first 2 shown]
	v_mul_f16_sdwa v90, v91, v79 dst_sel:DWORD dst_unused:UNUSED_PAD src0_sel:DWORD src1_sel:WORD_1
	v_fma_f16 v33, v33, v73, -v93
	v_fma_f16 v34, v34, v74, -v80
	v_fma_f16 v91, v91, v79, v92
	v_fma_f16 v69, v69, v75, -v82
	v_fma_f16 v70, v70, v76, -v84
	;; [unrolled: 1-line block ×5, first 2 shown]
	v_pack_b32_f16 v33, v33, v36
	v_pack_b32_f16 v34, v34, v81
	;; [unrolled: 1-line block ×7, first 2 shown]
	ds_write2_b32 v32, v33, v34 offset0:3 offset1:101
	ds_write2_b32 v29, v36, v69 offset0:71 offset1:169
	ds_write2_b32 v35, v70, v71 offset0:139 offset1:237
	ds_write_b32 v37, v30 offset:3388
.LBB0_9:
	s_or_b64 exec, exec, s[2:3]
	s_waitcnt lgkmcnt(0)
	; wave barrier
	s_waitcnt lgkmcnt(0)
	ds_read2_b32 v[29:30], v37 offset1:98
	ds_read2_b32 v[33:34], v31 offset0:68 offset1:166
	ds_read2_b32 v[31:32], v32 offset0:136 offset1:234
	;; [unrolled: 1-line block ×3, first 2 shown]
	ds_read_b32 v69, v37 offset:3136
	s_and_saveexec_b64 s[0:1], vcc
	s_cbranch_execz .LBB0_11
; %bb.10:
	v_add_u32_e32 v15, 0x400, v37
	ds_read2_b32 v[27:28], v15 offset0:3 offset1:101
	v_add_u32_e32 v15, 0x600, v37
	ds_read2_b32 v[21:22], v15 offset0:71 offset1:169
	v_add_u32_e32 v15, 0x800, v37
	ds_read2_b32 v[25:26], v37 offset0:63 offset1:161
	ds_read2_b32 v[15:16], v15 offset0:139 offset1:237
	ds_read_b32 v54, v37 offset:3388
	s_waitcnt lgkmcnt(4)
	v_lshrrev_b32_e32 v66, 16, v27
	v_lshrrev_b32_e32 v68, 16, v28
	s_waitcnt lgkmcnt(2)
	v_lshrrev_b32_e32 v64, 16, v25
	v_lshrrev_b32_e32 v65, 16, v26
	;; [unrolled: 1-line block ×4, first 2 shown]
	s_waitcnt lgkmcnt(1)
	v_lshrrev_b32_e32 v52, 16, v15
	v_lshrrev_b32_e32 v53, 16, v16
	s_waitcnt lgkmcnt(0)
	v_lshrrev_b32_e32 v48, 16, v54
.LBB0_11:
	s_or_b64 exec, exec, s[0:1]
	s_waitcnt lgkmcnt(0)
	v_pk_add_f16 v70, v30, v69
	v_pk_add_f16 v71, v33, v36
	v_lshrrev_b32_e32 v73, 16, v70
	s_movk_i32 s2, 0x3a21
	v_lshrrev_b32_e32 v75, 16, v29
	v_fma_f16 v76, v73, s2, v75
	v_lshrrev_b32_e32 v77, 16, v71
	s_movk_i32 s3, 0x318f
	v_pk_add_f16 v72, v34, v35
	v_fma_f16 v76, v77, s3, v76
	v_fma_f16 v75, v77, s2, v75
	v_pk_add_f16 v77, v71, v70
	v_pk_add_f16 v82, v31, v32 neg_lo:[0,1] neg_hi:[0,1]
	s_mov_b32 s14, 0xb924
	v_pk_add_f16 v79, v72, v77
	v_pk_add_f16 v30, v30, v69 neg_lo:[0,1] neg_hi:[0,1]
	s_movk_i32 s5, 0x3be1
	v_pk_mul_f16 v85, v82, s14 op_sel_hi:[1,0]
	v_pk_add_f16 v79, v31, v79
	v_pk_add_f16 v34, v34, v35 neg_lo:[0,1] neg_hi:[0,1]
	s_movk_i32 s4, 0x3aee
	v_pk_add_f16 v31, v31, v32
	v_pk_fma_f16 v85, v30, s5, v85 op_sel_hi:[1,0,1]
	v_pk_mul_f16 v35, v34, s4 op_sel_hi:[1,0]
	v_pk_fma_f16 v34, v34, s4, v85 op_sel_hi:[1,0,1] neg_lo:[1,0,0] neg_hi:[1,0,0]
	v_pk_fma_f16 v85, v31, s2, v29 op_sel_hi:[1,0,1]
	v_pk_add_f16 v33, v33, v36 neg_lo:[0,1] neg_hi:[0,1]
	v_lshrrev_b32_e32 v69, 16, v30
	v_pk_fma_f16 v85, v70, s3, v85 op_sel_hi:[1,0,1]
	v_fma_f16 v74, v70, s2, v29
	v_mul_f16_e32 v80, 0x3924, v69
	v_lshrrev_b32_e32 v81, 16, v33
	s_movk_i32 s12, 0x3579
	s_mov_b32 s13, 0xbb84
	v_pk_fma_f16 v85, v72, 0.5, v85 op_sel_hi:[1,0,1] neg_lo:[1,0,0] neg_hi:[1,0,0]
	v_fma_f16 v74, v71, s3, v74
	v_fma_f16 v78, v71, s2, v29
	;; [unrolled: 1-line block ×3, first 2 shown]
	v_pk_fma_f16 v34, v33, s12, v34 op_sel_hi:[1,0,1]
	v_pk_fma_f16 v71, v71, s13, v85 op_sel_hi:[1,0,1]
	v_add_f16_sdwa v80, v35, v80 dst_sel:DWORD dst_unused:UNUSED_PAD src0_sel:WORD_1 src1_sel:DWORD
	v_lshrrev_b32_e32 v83, 16, v82
	v_pk_add_f16 v85, v71, v34 op_sel:[0,1] op_sel_hi:[1,0] neg_lo:[0,1] neg_hi:[0,1]
	v_pk_add_f16 v71, v71, v34 op_sel:[0,1] op_sel_hi:[1,0]
	s_mov_b32 s0, 0xffff
	v_mul_f16_e32 v36, 0x3924, v30
	v_fma_f16 v80, v83, s12, v80
	v_bfi_b32 v71, s0, v85, v71
	v_mul_f16_e32 v85, 0x3be1, v82
	v_mul_f16_e32 v83, 0x3be1, v83
	v_fma_f16 v36, v33, s5, v36
	v_pk_mul_f16 v84, v72, 0.5 op_sel_hi:[1,0]
	v_fma_f16 v85, v33, s14, -v85
	v_fma_f16 v81, v81, s14, -v83
	v_pk_add_f16 v79, v32, v79
	v_add_f16_e32 v36, v35, v36
	v_sub_f16_sdwa v76, v76, v84 dst_sel:DWORD dst_unused:UNUSED_PAD src0_sel:DWORD src1_sel:WORD_1
	v_lshrrev_b32_e32 v32, 16, v31
	v_add_f16_e32 v83, v35, v85
	v_add_f16_sdwa v35, v35, v81 dst_sel:DWORD dst_unused:UNUSED_PAD src0_sel:WORD_1 src1_sel:DWORD
	v_fma_f16 v76, v32, s13, v76
	v_fma_f16 v35, v69, s12, v35
	;; [unrolled: 1-line block ×4, first 2 shown]
	v_sub_f16_e32 v74, v74, v84
	v_fma_f16 v81, v30, s12, v83
	v_sub_f16_e32 v69, v69, v84
	v_sub_f16_sdwa v32, v32, v84 dst_sel:DWORD dst_unused:UNUSED_PAD src0_sel:DWORD src1_sel:WORD_1
	v_pk_add_f16 v30, v82, v30
	v_pk_add_f16 v79, v79, v29
	v_fma_f16 v74, v31, s13, v74
	v_fma_f16 v69, v70, s13, v69
	;; [unrolled: 1-line block ×3, first 2 shown]
	v_pk_add_f16 v29, v72, v29
	v_pk_add_f16 v30, v30, v33 neg_lo:[0,1] neg_hi:[0,1]
	v_pk_add_f16 v31, v31, v77
	v_sub_f16_e32 v69, v69, v35
	v_add_f16_e32 v32, v81, v32
	v_pk_mul_f16 v30, v30, s4 op_sel_hi:[1,0]
	v_pk_fma_f16 v29, v31, 0.5, v29 op_sel_hi:[1,0,1] neg_lo:[1,0,0] neg_hi:[1,0,0]
	v_fma_f16 v35, v35, 2.0, v69
	v_fma_f16 v70, v81, -2.0, v32
	v_pk_add_f16 v31, v29, v30 op_sel:[0,1] op_sel_hi:[1,0] neg_lo:[0,1] neg_hi:[0,1]
	v_pk_add_f16 v29, v29, v30 op_sel:[0,1] op_sel_hi:[1,0]
	v_fma_f16 v36, v82, s12, v36
	v_bfi_b32 v29, s0, v31, v29
	v_pack_b32_f16 v31, v69, v32
	v_pack_b32_f16 v32, v35, v70
	s_waitcnt lgkmcnt(0)
	; wave barrier
	v_sub_f16_e32 v74, v74, v80
	v_add_f16_e32 v76, v36, v76
	ds_write2_b32 v49, v71, v29 offset0:2 offset1:3
	ds_write2_b32 v49, v31, v32 offset0:4 offset1:5
	v_pk_fma_f16 v31, v34, 2.0, v71 op_sel:[1,0,0] op_sel_hi:[0,0,1]
	v_pk_fma_f16 v32, v30, 2.0, v29 op_sel:[1,0,0] op_sel_hi:[0,0,1]
	v_pk_fma_f16 v33, v34, 2.0, v71 op_sel:[1,0,0] op_sel_hi:[0,0,1] neg_lo:[1,0,0] neg_hi:[1,0,0]
	v_pk_fma_f16 v29, v30, 2.0, v29 op_sel:[1,0,0] op_sel_hi:[0,0,1] neg_lo:[1,0,0] neg_hi:[1,0,0]
	v_fma_f16 v80, v80, 2.0, v74
	v_fma_f16 v36, v36, -2.0, v76
	v_bfi_b32 v29, s0, v32, v29
	v_bfi_b32 v30, s0, v31, v33
	v_pack_b32_f16 v73, v74, v76
	ds_write2_b32 v49, v29, v30 offset0:6 offset1:7
	v_pack_b32_f16 v29, v80, v36
	ds_write2_b32 v49, v79, v73 offset1:1
	ds_write_b32 v49, v29 offset:32
	s_and_saveexec_b64 s[0:1], vcc
	s_cbranch_execz .LBB0_13
; %bb.12:
	v_sub_f16_e32 v29, v65, v48
	v_sub_f16_e32 v31, v66, v53
	v_add_f16_e32 v53, v53, v66
	v_add_f16_e32 v48, v48, v65
	v_sub_f16_e32 v30, v68, v52
	v_add_f16_e32 v52, v52, v68
	v_add_f16_e32 v65, v53, v48
	;; [unrolled: 1-line block ×3, first 2 shown]
	v_sub_f16_e32 v32, v67, v51
	v_add_f16_e32 v34, v16, v27
	v_add_f16_e32 v69, v54, v26
	;; [unrolled: 1-line block ×9, first 2 shown]
	v_sub_f16_e32 v16, v27, v16
	v_sub_f16_e32 v27, v21, v22
	v_add_f16_e32 v21, v21, v68
	v_add_f16_e32 v21, v22, v21
	;; [unrolled: 1-line block ×4, first 2 shown]
	v_mul_f16_e32 v33, 0x3be1, v32
	v_sub_f16_e32 v15, v28, v15
	v_mul_f16_e32 v28, 0x3be1, v27
	v_fma_f16 v22, v67, -0.5, v22
	v_add_f16_e32 v67, v32, v29
	v_fma_f16 v33, v31, s14, -v33
	v_fma_f16 v28, v16, s14, -v28
	v_sub_f16_e32 v67, v67, v31
	s_mov_b32 s14, 0xbaee
	v_sub_f16_e32 v26, v26, v54
	v_mul_f16_e32 v68, 0x3aee, v67
	v_fma_f16 v22, v67, s14, v22
	v_fma_f16 v67, v68, 2.0, v22
	v_add_f16_e32 v68, v27, v26
	v_add_f16_e32 v71, v52, v64
	;; [unrolled: 1-line block ×3, first 2 shown]
	v_mul_f16_e32 v72, 0xb924, v27
	v_fma_f16 v28, v15, s4, v28
	v_sub_f16_e32 v68, v68, v16
	v_fma_f16 v65, v65, -0.5, v71
	v_fma_f16 v72, v26, s5, v72
	v_fma_f16 v28, v26, s12, v28
	v_mul_f16_e32 v70, 0x3aee, v68
	v_fma_f16 v65, v68, s4, v65
	v_fma_f16 v72, v15, s14, v72
	v_mul_f16_e32 v26, 0x3924, v26
	v_fma_f16 v33, v30, s4, v33
	v_fma_f16 v68, v70, -2.0, v65
	v_mul_f16_e32 v70, 0xb924, v32
	v_fma_f16 v72, v16, s12, v72
	v_fma_f16 v16, v16, s5, v26
	v_fma_f16 v33, v29, s12, v33
	v_fma_f16 v35, v34, s2, v25
	v_add_f16_e32 v21, v25, v21
	v_fma_f16 v70, v29, s5, v70
	v_fma_f16 v71, v36, s2, v25
	;; [unrolled: 1-line block ×3, first 2 shown]
	v_mul_f16_e32 v29, 0x3924, v29
	v_fma_f16 v15, v15, s4, v16
	v_fma_f16 v16, v48, s2, v64
	;; [unrolled: 1-line block ×11, first 2 shown]
	v_fma_f16 v25, v49, -0.5, v25
	v_fma_f16 v29, v30, s4, v29
	v_fma_f16 v16, v52, -0.5, v16
	v_fma_f16 v35, v49, -0.5, v35
	;; [unrolled: 1-line block ×3, first 2 shown]
	v_fma_f16 v70, v30, s14, v70
	v_fma_f16 v71, v49, -0.5, v71
	v_fma_f16 v73, v52, -0.5, v73
	v_fma_f16 v25, v36, s13, v25
	v_fma_f16 v29, v32, s12, v29
	;; [unrolled: 1-line block ×6, first 2 shown]
	v_add_f16_e32 v51, v64, v51
	v_fma_f16 v70, v31, s12, v70
	v_fma_f16 v71, v34, s13, v71
	v_fma_f16 v73, v53, s13, v73
	v_sub_f16_e32 v25, v25, v29
	v_add_f16_e32 v16, v15, v16
	v_sub_f16_e32 v35, v35, v33
	v_add_f16_e32 v54, v28, v54
	;; [unrolled: 2-line block ×3, first 2 shown]
	v_fma_f16 v15, v15, -2.0, v16
	v_lshlrev_b32_e32 v26, 2, v50
	v_pack_b32_f16 v16, v25, v16
	v_pack_b32_f16 v21, v21, v51
	v_fma_f16 v33, v33, 2.0, v35
	v_fma_f16 v28, v28, -2.0, v54
	ds_write2_b32 v26, v21, v16 offset1:1
	v_pack_b32_f16 v16, v22, v65
	v_pack_b32_f16 v21, v71, v73
	v_fma_f16 v70, v70, 2.0, v71
	v_fma_f16 v72, v72, -2.0, v73
	v_fma_f16 v29, v29, 2.0, v25
	ds_write2_b32 v26, v21, v16 offset0:2 offset1:3
	v_pack_b32_f16 v16, v35, v54
	v_pack_b32_f16 v21, v33, v28
	ds_write2_b32 v26, v16, v21 offset0:4 offset1:5
	v_pack_b32_f16 v16, v67, v68
	v_pack_b32_f16 v21, v70, v72
	;; [unrolled: 1-line block ×3, first 2 shown]
	ds_write2_b32 v26, v16, v21 offset0:6 offset1:7
	ds_write_b32 v26, v15 offset:32
.LBB0_13:
	s_or_b64 exec, exec, s[0:1]
	s_waitcnt lgkmcnt(0)
	; wave barrier
	s_waitcnt lgkmcnt(0)
	ds_read2_b32 v[26:27], v37 offset0:126 offset1:189
	ds_read2_b32 v[28:29], v37 offset1:63
	v_add_u32_e32 v22, 0x200, v37
	ds_read2_b32 v[30:31], v22 offset0:124 offset1:187
	v_add_u32_e32 v21, 0x400, v37
	ds_read2_b32 v[32:33], v21 offset0:122 offset1:185
	s_waitcnt lgkmcnt(3)
	v_lshrrev_b32_e32 v36, 16, v26
	v_add_u32_e32 v16, 0x600, v37
	ds_read2_b32 v[34:35], v16 offset0:120 offset1:183
	v_mul_f16_sdwa v72, v0, v36 dst_sel:DWORD dst_unused:UNUSED_PAD src0_sel:WORD_1 src1_sel:DWORD
	v_add_u32_e32 v15, 0x800, v37
	s_waitcnt lgkmcnt(2)
	v_lshrrev_b32_e32 v52, 16, v30
	v_fma_f16 v72, v0, v26, v72
	v_mul_f16_sdwa v26, v0, v26 dst_sel:DWORD dst_unused:UNUSED_PAD src0_sel:WORD_1 src1_sel:DWORD
	ds_read2_b32 v[48:49], v15 offset0:118 offset1:181
	v_add_u32_e32 v25, 0xa00, v37
	v_fma_f16 v0, v0, v36, -v26
	v_mul_f16_sdwa v26, v1, v52 dst_sel:DWORD dst_unused:UNUSED_PAD src0_sel:WORD_1 src1_sel:DWORD
	ds_read2_b32 v[50:51], v25 offset0:116 offset1:179
	s_waitcnt lgkmcnt(3)
	v_lshrrev_b32_e32 v53, 16, v32
	v_fma_f16 v26, v1, v30, v26
	v_mul_f16_sdwa v30, v1, v30 dst_sel:DWORD dst_unused:UNUSED_PAD src0_sel:WORD_1 src1_sel:DWORD
	v_fma_f16 v1, v1, v52, -v30
	v_mul_f16_sdwa v30, v2, v53 dst_sel:DWORD dst_unused:UNUSED_PAD src0_sel:WORD_1 src1_sel:DWORD
	s_waitcnt lgkmcnt(2)
	v_lshrrev_b32_e32 v54, 16, v34
	v_fma_f16 v30, v2, v32, v30
	v_mul_f16_sdwa v32, v2, v32 dst_sel:DWORD dst_unused:UNUSED_PAD src0_sel:WORD_1 src1_sel:DWORD
	v_fma_f16 v2, v2, v53, -v32
	v_mul_f16_sdwa v32, v3, v54 dst_sel:DWORD dst_unused:UNUSED_PAD src0_sel:WORD_1 src1_sel:DWORD
	s_waitcnt lgkmcnt(1)
	v_lshrrev_b32_e32 v64, 16, v48
	v_fma_f16 v32, v3, v34, v32
	v_mul_f16_sdwa v34, v3, v34 dst_sel:DWORD dst_unused:UNUSED_PAD src0_sel:WORD_1 src1_sel:DWORD
	s_waitcnt lgkmcnt(0)
	v_lshrrev_b32_e32 v65, 16, v50
	v_fma_f16 v3, v3, v54, -v34
	v_mul_f16_sdwa v34, v19, v64 dst_sel:DWORD dst_unused:UNUSED_PAD src0_sel:WORD_1 src1_sel:DWORD
	v_mul_f16_sdwa v36, v19, v48 dst_sel:DWORD dst_unused:UNUSED_PAD src0_sel:WORD_1 src1_sel:DWORD
	v_lshrrev_b32_e32 v66, 16, v27
	v_fma_f16 v34, v19, v48, v34
	v_fma_f16 v19, v19, v64, -v36
	v_mul_f16_sdwa v36, v20, v65 dst_sel:DWORD dst_unused:UNUSED_PAD src0_sel:WORD_1 src1_sel:DWORD
	v_mul_f16_sdwa v48, v20, v50 dst_sel:DWORD dst_unused:UNUSED_PAD src0_sel:WORD_1 src1_sel:DWORD
	v_fma_f16 v36, v20, v50, v36
	v_fma_f16 v20, v20, v65, -v48
	v_mul_f16_sdwa v48, v4, v66 dst_sel:DWORD dst_unused:UNUSED_PAD src0_sel:WORD_1 src1_sel:DWORD
	v_lshrrev_b32_e32 v67, 16, v31
	v_fma_f16 v48, v4, v27, v48
	v_mul_f16_sdwa v27, v4, v27 dst_sel:DWORD dst_unused:UNUSED_PAD src0_sel:WORD_1 src1_sel:DWORD
	v_fma_f16 v4, v4, v66, -v27
	v_mul_f16_sdwa v27, v5, v67 dst_sel:DWORD dst_unused:UNUSED_PAD src0_sel:WORD_1 src1_sel:DWORD
	v_lshrrev_b32_e32 v68, 16, v33
	v_fma_f16 v27, v5, v31, v27
	v_mul_f16_sdwa v31, v5, v31 dst_sel:DWORD dst_unused:UNUSED_PAD src0_sel:WORD_1 src1_sel:DWORD
	;; [unrolled: 5-line block ×5, first 2 shown]
	v_fma_f16 v17, v17, v70, -v49
	v_mul_f16_sdwa v49, v18, v71 dst_sel:DWORD dst_unused:UNUSED_PAD src0_sel:WORD_1 src1_sel:DWORD
	v_mul_f16_sdwa v50, v18, v51 dst_sel:DWORD dst_unused:UNUSED_PAD src0_sel:WORD_1 src1_sel:DWORD
	v_fma_f16 v49, v18, v51, v49
	v_fma_f16 v18, v18, v71, -v50
	v_add_f16_e32 v50, v72, v36
	v_add_f16_e32 v51, v0, v20
	v_sub_f16_e32 v0, v0, v20
	v_add_f16_e32 v20, v26, v34
	v_add_f16_e32 v52, v1, v19
	v_sub_f16_e32 v36, v72, v36
	v_sub_f16_e32 v26, v26, v34
	;; [unrolled: 1-line block ×3, first 2 shown]
	v_add_f16_e32 v19, v30, v32
	v_add_f16_e32 v34, v2, v3
	v_sub_f16_e32 v30, v32, v30
	v_sub_f16_e32 v2, v3, v2
	v_add_f16_e32 v3, v20, v50
	v_add_f16_e32 v32, v52, v51
	v_sub_f16_e32 v53, v20, v50
	v_sub_f16_e32 v54, v52, v51
	;; [unrolled: 1-line block ×6, first 2 shown]
	v_add_f16_e32 v64, v30, v26
	v_add_f16_e32 v65, v2, v1
	v_sub_f16_e32 v66, v30, v26
	v_sub_f16_e32 v67, v2, v1
	v_sub_f16_e32 v26, v26, v36
	v_sub_f16_e32 v1, v1, v0
	v_add_f16_e32 v3, v19, v3
	v_add_f16_e32 v19, v34, v32
	v_sub_f16_e32 v30, v36, v30
	v_sub_f16_e32 v2, v0, v2
	v_add_f16_e32 v32, v64, v36
	v_add_f16_e32 v0, v65, v0
	;; [unrolled: 1-line block ×3, first 2 shown]
	v_add_f16_sdwa v28, v28, v19 dst_sel:DWORD dst_unused:UNUSED_PAD src0_sel:WORD_1 src1_sel:DWORD
	v_mul_f16_e32 v36, 0x3a52, v50
	v_mul_f16_e32 v50, 0x3a52, v51
	s_movk_i32 s1, 0x2b26
	v_mul_f16_e32 v51, 0x2b26, v20
	v_mul_f16_e32 v64, 0x2b26, v52
	;; [unrolled: 1-line block ×4, first 2 shown]
	s_mov_b32 s0, 0xbb00
	v_mul_f16_e32 v67, 0xbb00, v26
	v_mul_f16_e32 v68, 0xbb00, v1
	s_mov_b32 s2, 0xbcab
	s_movk_i32 s3, 0x39e0
	s_mov_b32 s5, 0xb9e0
	s_mov_b32 s12, 0xb574
	s_movk_i32 s13, 0x3574
	v_fma_f16 v3, v3, s2, v34
	v_fma_f16 v19, v19, s2, v28
	;; [unrolled: 1-line block ×4, first 2 shown]
	v_fma_f16 v51, v53, s3, -v51
	v_fma_f16 v64, v54, s3, -v64
	v_fma_f16 v36, v53, s5, -v36
	v_fma_f16 v50, v54, s5, -v50
	v_fma_f16 v53, v30, s12, v65
	v_fma_f16 v54, v2, s12, v66
	v_fma_f16 v1, v1, s0, -v66
	v_fma_f16 v30, v30, s13, -v67
	;; [unrolled: 1-line block ×3, first 2 shown]
	s_mov_b32 s4, 0xb70e
	v_fma_f16 v26, v26, s0, -v65
	v_add_f16_e32 v20, v20, v3
	v_add_f16_e32 v52, v52, v19
	v_add_f16_e32 v51, v51, v3
	v_add_f16_e32 v64, v64, v19
	v_add_f16_e32 v3, v36, v3
	v_add_f16_e32 v19, v50, v19
	v_fma_f16 v36, v32, s4, v53
	v_fma_f16 v50, v0, s4, v54
	;; [unrolled: 1-line block ×6, first 2 shown]
	v_add_f16_e32 v2, v50, v20
	v_sub_f16_e32 v32, v52, v36
	v_add_f16_e32 v53, v0, v3
	v_sub_f16_e32 v54, v19, v30
	v_sub_f16_e32 v0, v3, v0
	v_add_f16_e32 v3, v30, v19
	v_sub_f16_e32 v19, v20, v50
	v_add_f16_e32 v20, v36, v52
	v_add_f16_e32 v30, v48, v49
	;; [unrolled: 1-line block ×3, first 2 shown]
	v_sub_f16_e32 v48, v48, v49
	v_sub_f16_e32 v4, v4, v18
	v_add_f16_e32 v18, v27, v35
	v_add_f16_e32 v49, v5, v17
	v_sub_f16_e32 v27, v27, v35
	v_sub_f16_e32 v5, v5, v17
	v_add_f16_e32 v17, v31, v33
	v_add_f16_e32 v35, v6, v7
	v_sub_f16_e32 v31, v33, v31
	v_sub_f16_e32 v6, v7, v6
	v_add_f16_e32 v7, v18, v30
	v_add_f16_e32 v33, v49, v36
	v_sub_f16_e32 v65, v51, v1
	v_add_f16_e32 v66, v26, v64
	v_add_f16_e32 v1, v1, v51
	v_sub_f16_e32 v26, v64, v26
	v_sub_f16_e32 v50, v18, v30
	;; [unrolled: 1-line block ×7, first 2 shown]
	v_add_f16_e32 v52, v31, v27
	v_add_f16_e32 v64, v6, v5
	v_sub_f16_e32 v67, v31, v27
	v_sub_f16_e32 v68, v6, v5
	v_add_f16_e32 v7, v17, v7
	v_add_f16_e32 v17, v35, v33
	v_sub_f16_e32 v31, v48, v31
	v_sub_f16_e32 v6, v4, v6
	;; [unrolled: 1-line block ×4, first 2 shown]
	v_add_f16_e32 v33, v52, v48
	v_add_f16_e32 v4, v64, v4
	;; [unrolled: 1-line block ×3, first 2 shown]
	v_add_f16_sdwa v29, v29, v17 dst_sel:DWORD dst_unused:UNUSED_PAD src0_sel:WORD_1 src1_sel:DWORD
	v_mul_f16_e32 v30, 0x3a52, v30
	v_mul_f16_e32 v36, 0x3a52, v36
	;; [unrolled: 1-line block ×8, first 2 shown]
	v_fma_f16 v7, v7, s2, v35
	v_fma_f16 v17, v17, s2, v29
	;; [unrolled: 1-line block ×4, first 2 shown]
	v_fma_f16 v48, v50, s3, -v48
	v_fma_f16 v52, v51, s3, -v52
	;; [unrolled: 1-line block ×4, first 2 shown]
	v_fma_f16 v50, v31, s12, v64
	v_fma_f16 v51, v6, s12, v67
	v_fma_f16 v27, v27, s0, -v64
	v_fma_f16 v5, v5, s0, -v67
	;; [unrolled: 1-line block ×4, first 2 shown]
	v_add_f16_e32 v18, v18, v7
	v_add_f16_e32 v49, v49, v17
	;; [unrolled: 1-line block ×6, first 2 shown]
	v_fma_f16 v30, v33, s4, v50
	v_fma_f16 v36, v4, s4, v51
	v_pack_b32_f16 v1, v1, v26
	v_pack_b32_f16 v0, v0, v3
	v_fma_f16 v27, v33, s4, v27
	v_fma_f16 v5, v4, s4, v5
	;; [unrolled: 1-line block ×4, first 2 shown]
	v_add_f16_e32 v6, v36, v18
	v_sub_f16_e32 v33, v49, v30
	s_waitcnt lgkmcnt(0)
	; wave barrier
	v_pack_b32_f16 v28, v34, v28
	v_pack_b32_f16 v2, v2, v32
	ds_write2_b32 v55, v1, v0 offset0:36 offset1:45
	v_pack_b32_f16 v0, v19, v20
	v_add_f16_e32 v50, v4, v7
	v_sub_f16_e32 v51, v17, v31
	v_sub_f16_e32 v64, v48, v5
	v_add_f16_e32 v67, v27, v52
	ds_write2_b32 v55, v28, v2 offset1:9
	v_pack_b32_f16 v2, v53, v54
	v_pack_b32_f16 v28, v65, v66
	ds_write_b32 v55, v0 offset:216
	v_pack_b32_f16 v0, v35, v29
	v_pack_b32_f16 v1, v6, v33
	v_add_f16_e32 v5, v5, v48
	v_sub_f16_e32 v27, v52, v27
	v_sub_f16_e32 v4, v7, v4
	v_add_f16_e32 v7, v31, v17
	ds_write2_b32 v55, v2, v28 offset0:18 offset1:27
	ds_write2_b32 v56, v0, v1 offset1:9
	v_pack_b32_f16 v0, v50, v51
	v_pack_b32_f16 v1, v64, v67
	v_sub_f16_e32 v17, v18, v36
	v_add_f16_e32 v18, v30, v49
	ds_write2_b32 v56, v0, v1 offset0:18 offset1:27
	v_pack_b32_f16 v0, v5, v27
	v_pack_b32_f16 v1, v4, v7
	ds_write2_b32 v56, v0, v1 offset0:36 offset1:45
	v_pack_b32_f16 v0, v17, v18
	ds_write_b32 v56, v0 offset:216
	s_waitcnt lgkmcnt(0)
	; wave barrier
	s_waitcnt lgkmcnt(0)
	ds_read2_b32 v[0:1], v37 offset0:126 offset1:189
	ds_read2_b32 v[2:3], v37 offset1:63
	ds_read2_b32 v[4:5], v22 offset0:124 offset1:187
	ds_read2_b32 v[6:7], v21 offset0:122 offset1:185
	;; [unrolled: 1-line block ×5, first 2 shown]
	s_waitcnt lgkmcnt(4)
	v_lshrrev_b32_e32 v29, 16, v4
	s_waitcnt lgkmcnt(3)
	v_lshrrev_b32_e32 v30, 16, v6
	v_lshrrev_b32_e32 v28, 16, v0
	v_mul_f16_sdwa v51, v8, v28 dst_sel:DWORD dst_unused:UNUSED_PAD src0_sel:WORD_1 src1_sel:DWORD
	v_fma_f16 v51, v8, v0, v51
	v_mul_f16_sdwa v0, v8, v0 dst_sel:DWORD dst_unused:UNUSED_PAD src0_sel:WORD_1 src1_sel:DWORD
	v_fma_f16 v0, v8, v28, -v0
	v_mul_f16_sdwa v28, v9, v29 dst_sel:DWORD dst_unused:UNUSED_PAD src0_sel:WORD_1 src1_sel:DWORD
	v_fma_f16 v28, v9, v4, v28
	v_mul_f16_sdwa v4, v9, v4 dst_sel:DWORD dst_unused:UNUSED_PAD src0_sel:WORD_1 src1_sel:DWORD
	v_fma_f16 v4, v9, v29, -v4
	v_mul_f16_sdwa v29, v10, v30 dst_sel:DWORD dst_unused:UNUSED_PAD src0_sel:WORD_1 src1_sel:DWORD
	s_waitcnt lgkmcnt(2)
	v_lshrrev_b32_e32 v31, 16, v17
	v_fma_f16 v29, v10, v6, v29
	v_mul_f16_sdwa v6, v10, v6 dst_sel:DWORD dst_unused:UNUSED_PAD src0_sel:WORD_1 src1_sel:DWORD
	v_fma_f16 v6, v10, v30, -v6
	v_mul_f16_sdwa v30, v11, v31 dst_sel:DWORD dst_unused:UNUSED_PAD src0_sel:WORD_1 src1_sel:DWORD
	s_waitcnt lgkmcnt(1)
	v_lshrrev_b32_e32 v32, 16, v19
	;; [unrolled: 6-line block ×3, first 2 shown]
	v_fma_f16 v31, v23, v19, v31
	v_mul_f16_sdwa v19, v23, v19 dst_sel:DWORD dst_unused:UNUSED_PAD src0_sel:WORD_1 src1_sel:DWORD
	v_fma_f16 v19, v23, v32, -v19
	v_mul_f16_sdwa v32, v24, v33 dst_sel:DWORD dst_unused:UNUSED_PAD src0_sel:WORD_1 src1_sel:DWORD
	v_lshrrev_b32_e32 v34, 16, v1
	v_fma_f16 v32, v24, v26, v32
	v_mul_f16_sdwa v26, v24, v26 dst_sel:DWORD dst_unused:UNUSED_PAD src0_sel:WORD_1 src1_sel:DWORD
	v_fma_f16 v26, v24, v33, -v26
	v_mul_f16_sdwa v33, v8, v34 dst_sel:DWORD dst_unused:UNUSED_PAD src0_sel:WORD_1 src1_sel:DWORD
	v_lshrrev_b32_e32 v35, 16, v5
	;; [unrolled: 5-line block ×6, first 2 shown]
	v_fma_f16 v18, v23, v20, v18
	v_mul_f16_sdwa v20, v23, v20 dst_sel:DWORD dst_unused:UNUSED_PAD src0_sel:WORD_1 src1_sel:DWORD
	v_fma_f16 v20, v23, v49, -v20
	v_mul_f16_sdwa v23, v24, v50 dst_sel:DWORD dst_unused:UNUSED_PAD src0_sel:WORD_1 src1_sel:DWORD
	v_fma_f16 v23, v24, v27, v23
	v_mul_f16_sdwa v27, v24, v27 dst_sel:DWORD dst_unused:UNUSED_PAD src0_sel:WORD_1 src1_sel:DWORD
	v_fma_f16 v24, v24, v50, -v27
	v_add_f16_e32 v27, v51, v32
	v_add_f16_e32 v34, v0, v26
	v_sub_f16_e32 v0, v0, v26
	v_add_f16_e32 v26, v28, v31
	v_add_f16_e32 v35, v4, v19
	v_sub_f16_e32 v32, v51, v32
	v_sub_f16_e32 v28, v28, v31
	;; [unrolled: 1-line block ×3, first 2 shown]
	v_add_f16_e32 v19, v29, v30
	v_add_f16_e32 v31, v6, v17
	v_sub_f16_e32 v29, v30, v29
	v_sub_f16_e32 v6, v17, v6
	v_add_f16_e32 v17, v26, v27
	v_add_f16_e32 v30, v35, v34
	v_sub_f16_e32 v36, v26, v27
	v_sub_f16_e32 v48, v35, v34
	;; [unrolled: 1-line block ×6, first 2 shown]
	v_add_f16_e32 v49, v29, v28
	v_add_f16_e32 v50, v6, v4
	v_sub_f16_e32 v51, v29, v28
	v_sub_f16_e32 v52, v6, v4
	;; [unrolled: 1-line block ×4, first 2 shown]
	v_add_f16_e32 v17, v19, v17
	v_add_f16_e32 v19, v31, v30
	v_sub_f16_e32 v29, v32, v29
	v_sub_f16_e32 v6, v0, v6
	v_add_f16_e32 v30, v49, v32
	v_add_f16_e32 v0, v50, v0
	;; [unrolled: 1-line block ×3, first 2 shown]
	v_add_f16_sdwa v2, v2, v19 dst_sel:DWORD dst_unused:UNUSED_PAD src0_sel:WORD_1 src1_sel:DWORD
	v_mul_f16_e32 v27, 0x3a52, v27
	v_mul_f16_e32 v32, 0x3a52, v34
	;; [unrolled: 1-line block ×8, first 2 shown]
	v_fma_f16 v17, v17, s2, v31
	v_fma_f16 v19, v19, s2, v2
	;; [unrolled: 1-line block ×4, first 2 shown]
	v_fma_f16 v34, v36, s3, -v34
	v_fma_f16 v49, v48, s3, -v49
	;; [unrolled: 1-line block ×4, first 2 shown]
	v_fma_f16 v36, v29, s12, v50
	v_fma_f16 v48, v6, s12, v51
	v_fma_f16 v4, v4, s0, -v51
	v_fma_f16 v29, v29, s13, -v52
	;; [unrolled: 1-line block ×4, first 2 shown]
	v_add_f16_e32 v26, v26, v17
	v_add_f16_e32 v35, v35, v19
	v_add_f16_e32 v34, v34, v17
	v_add_f16_e32 v49, v49, v19
	v_add_f16_e32 v17, v27, v17
	v_add_f16_e32 v19, v32, v19
	v_fma_f16 v27, v30, s4, v36
	v_fma_f16 v32, v0, s4, v48
	v_fma_f16 v4, v0, s4, v4
	v_fma_f16 v29, v30, s4, v29
	v_fma_f16 v0, v0, s4, v6
	v_fma_f16 v28, v30, s4, v28
	v_add_f16_e32 v6, v32, v26
	v_sub_f16_e32 v30, v35, v27
	v_add_f16_e32 v36, v0, v17
	v_sub_f16_e32 v48, v19, v29
	v_sub_f16_e32 v0, v17, v0
	v_add_f16_e32 v17, v29, v19
	v_sub_f16_e32 v19, v26, v32
	v_add_f16_e32 v26, v27, v35
	v_add_f16_e32 v27, v33, v23
	;; [unrolled: 1-line block ×3, first 2 shown]
	v_sub_f16_e32 v1, v1, v24
	v_add_f16_e32 v24, v8, v18
	v_add_f16_e32 v32, v5, v20
	v_sub_f16_e32 v23, v33, v23
	v_sub_f16_e32 v8, v8, v18
	;; [unrolled: 1-line block ×3, first 2 shown]
	v_add_f16_e32 v18, v9, v10
	v_add_f16_e32 v20, v7, v11
	v_sub_f16_e32 v9, v10, v9
	v_sub_f16_e32 v7, v11, v7
	v_add_f16_e32 v10, v24, v27
	v_add_f16_e32 v11, v32, v29
	v_sub_f16_e32 v50, v34, v4
	v_add_f16_e32 v51, v28, v49
	v_add_f16_e32 v4, v4, v34
	v_sub_f16_e32 v28, v49, v28
	v_sub_f16_e32 v33, v24, v27
	;; [unrolled: 1-line block ×7, first 2 shown]
	v_add_f16_e32 v35, v9, v8
	v_add_f16_e32 v49, v7, v5
	v_sub_f16_e32 v52, v9, v8
	v_sub_f16_e32 v53, v7, v5
	;; [unrolled: 1-line block ×4, first 2 shown]
	v_add_f16_e32 v10, v18, v10
	v_add_f16_e32 v11, v20, v11
	v_sub_f16_e32 v9, v23, v9
	v_sub_f16_e32 v7, v1, v7
	v_add_f16_e32 v18, v35, v23
	v_add_f16_e32 v1, v49, v1
	;; [unrolled: 1-line block ×3, first 2 shown]
	v_add_f16_sdwa v3, v3, v11 dst_sel:DWORD dst_unused:UNUSED_PAD src0_sel:WORD_1 src1_sel:DWORD
	v_mul_f16_e32 v23, 0x3a52, v27
	v_mul_f16_e32 v27, 0x3a52, v29
	v_mul_f16_e32 v29, 0x2b26, v24
	v_mul_f16_e32 v35, 0x2b26, v32
	v_mul_f16_e32 v49, 0x3846, v52
	v_mul_f16_e32 v52, 0x3846, v53
	v_mul_f16_e32 v53, 0xbb00, v8
	v_mul_f16_e32 v54, 0xbb00, v5
	v_pack_b32_f16 v2, v31, v2
	v_pack_b32_f16 v6, v6, v30
	v_fma_f16 v10, v10, s2, v20
	v_fma_f16 v11, v11, s2, v3
	;; [unrolled: 1-line block ×4, first 2 shown]
	v_fma_f16 v29, v33, s3, -v29
	v_fma_f16 v35, v34, s3, -v35
	;; [unrolled: 1-line block ×4, first 2 shown]
	v_fma_f16 v33, v9, s12, v49
	v_fma_f16 v34, v7, s12, v52
	v_fma_f16 v5, v5, s0, -v52
	v_fma_f16 v9, v9, s13, -v53
	;; [unrolled: 1-line block ×3, first 2 shown]
	s_waitcnt lgkmcnt(0)
	; wave barrier
	ds_write2_b32 v37, v2, v6 offset1:63
	v_pack_b32_f16 v2, v36, v48
	v_pack_b32_f16 v6, v50, v51
	v_fma_f16 v8, v8, s0, -v49
	v_add_f16_e32 v24, v24, v10
	v_add_f16_e32 v32, v32, v11
	;; [unrolled: 1-line block ×6, first 2 shown]
	v_fma_f16 v23, v18, s4, v33
	v_fma_f16 v27, v1, s4, v34
	;; [unrolled: 1-line block ×5, first 2 shown]
	ds_write2_b32 v37, v2, v6 offset0:126 offset1:189
	v_pack_b32_f16 v2, v4, v28
	v_pack_b32_f16 v0, v0, v17
	v_fma_f16 v8, v18, s4, v8
	v_add_f16_e32 v7, v27, v24
	v_sub_f16_e32 v18, v32, v23
	v_add_f16_e32 v33, v1, v10
	v_sub_f16_e32 v34, v11, v9
	ds_write2_b32 v22, v2, v0 offset0:124 offset1:187
	v_pack_b32_f16 v0, v19, v26
	v_pack_b32_f16 v2, v20, v3
	v_sub_f16_e32 v49, v29, v5
	v_add_f16_e32 v52, v8, v35
	v_add_f16_e32 v5, v5, v29
	v_sub_f16_e32 v8, v35, v8
	ds_write2_b32 v21, v0, v2 offset0:122 offset1:185
	v_pack_b32_f16 v0, v7, v18
	v_pack_b32_f16 v2, v33, v34
	v_sub_f16_e32 v1, v10, v1
	v_add_f16_e32 v9, v9, v11
	v_sub_f16_e32 v10, v24, v27
	v_add_f16_e32 v11, v23, v32
	ds_write2_b32 v16, v0, v2 offset0:120 offset1:183
	v_pack_b32_f16 v0, v49, v52
	v_pack_b32_f16 v2, v5, v8
	ds_write2_b32 v15, v0, v2 offset0:118 offset1:181
	v_pack_b32_f16 v0, v1, v9
	v_pack_b32_f16 v1, v10, v11
	ds_write2_b32 v25, v0, v1 offset0:116 offset1:179
	s_waitcnt lgkmcnt(0)
	; wave barrier
	s_waitcnt lgkmcnt(0)
	ds_read2_b32 v[0:1], v37 offset1:63
	ds_read2_b32 v[2:3], v21 offset0:122 offset1:185
	ds_read2_b32 v[4:5], v16 offset0:120 offset1:183
	;; [unrolled: 1-line block ×6, first 2 shown]
	s_waitcnt lgkmcnt(5)
	v_lshrrev_b32_e32 v20, 16, v3
	v_mul_f16_sdwa v36, v57, v20 dst_sel:DWORD dst_unused:UNUSED_PAD src0_sel:WORD_1 src1_sel:DWORD
	s_waitcnt lgkmcnt(4)
	v_lshrrev_b32_e32 v24, 16, v4
	v_fma_f16 v36, v57, v3, v36
	v_mul_f16_sdwa v3, v57, v3 dst_sel:DWORD dst_unused:UNUSED_PAD src0_sel:WORD_1 src1_sel:DWORD
	v_fma_f16 v3, v57, v20, -v3
	v_mul_f16_sdwa v20, v58, v24 dst_sel:DWORD dst_unused:UNUSED_PAD src0_sel:WORD_1 src1_sel:DWORD
	v_lshrrev_b32_e32 v27, 16, v5
	v_fma_f16 v20, v58, v4, v20
	v_mul_f16_sdwa v4, v58, v4 dst_sel:DWORD dst_unused:UNUSED_PAD src0_sel:WORD_1 src1_sel:DWORD
	v_fma_f16 v4, v58, v24, -v4
	v_mul_f16_sdwa v24, v59, v27 dst_sel:DWORD dst_unused:UNUSED_PAD src0_sel:WORD_1 src1_sel:DWORD
	s_waitcnt lgkmcnt(2)
	v_lshrrev_b32_e32 v29, 16, v8
	v_fma_f16 v24, v59, v5, v24
	v_mul_f16_sdwa v5, v59, v5 dst_sel:DWORD dst_unused:UNUSED_PAD src0_sel:WORD_1 src1_sel:DWORD
	v_fma_f16 v5, v59, v27, -v5
	v_mul_f16_sdwa v27, v60, v29 dst_sel:DWORD dst_unused:UNUSED_PAD src0_sel:WORD_1 src1_sel:DWORD
	v_lshrrev_b32_e32 v31, 16, v9
	v_fma_f16 v27, v60, v8, v27
	v_mul_f16_sdwa v8, v60, v8 dst_sel:DWORD dst_unused:UNUSED_PAD src0_sel:WORD_1 src1_sel:DWORD
	v_fma_f16 v8, v60, v29, -v8
	;; [unrolled: 11-line block ×3, first 2 shown]
	v_mul_f16_sdwa v33, v63, v35 dst_sel:DWORD dst_unused:UNUSED_PAD src0_sel:WORD_1 src1_sel:DWORD
	v_lshrrev_b32_e32 v19, 16, v0
	v_lshrrev_b32_e32 v23, 16, v1
	v_fma_f16 v33, v63, v18, v33
	v_mul_f16_sdwa v18, v63, v18 dst_sel:DWORD dst_unused:UNUSED_PAD src0_sel:WORD_1 src1_sel:DWORD
	v_fma_f16 v18, v63, v35, -v18
	v_sub_f16_e32 v35, v0, v36
	v_sub_f16_e32 v3, v19, v3
	v_sub_f16_e32 v20, v1, v20
	v_sub_f16_e32 v4, v23, v4
	v_lshrrev_b32_e32 v26, 16, v6
	v_lshrrev_b32_e32 v28, 16, v7
	v_fma_f16 v0, v0, 2.0, -v35
	v_fma_f16 v19, v19, 2.0, -v3
	;; [unrolled: 1-line block ×4, first 2 shown]
	v_sub_f16_e32 v24, v6, v24
	v_sub_f16_e32 v5, v26, v5
	;; [unrolled: 1-line block ×4, first 2 shown]
	v_pack_b32_f16 v0, v0, v19
	v_pack_b32_f16 v1, v1, v23
	v_lshrrev_b32_e32 v30, 16, v10
	v_lshrrev_b32_e32 v32, 16, v11
	v_fma_f16 v6, v6, 2.0, -v24
	v_fma_f16 v26, v26, 2.0, -v5
	;; [unrolled: 1-line block ×4, first 2 shown]
	ds_write2_b32 v37, v0, v1 offset1:63
	v_pack_b32_f16 v0, v20, v4
	v_pack_b32_f16 v4, v24, v5
	v_lshrrev_b32_e32 v34, 16, v2
	v_sub_f16_e32 v29, v10, v29
	v_sub_f16_e32 v9, v30, v9
	;; [unrolled: 1-line block ×4, first 2 shown]
	v_pack_b32_f16 v1, v6, v26
	ds_write2_b32 v16, v0, v4 offset0:120 offset1:183
	v_pack_b32_f16 v0, v7, v28
	v_fma_f16 v10, v10, 2.0, -v29
	v_fma_f16 v30, v30, 2.0, -v9
	;; [unrolled: 1-line block ×4, first 2 shown]
	v_sub_f16_e32 v33, v2, v33
	v_sub_f16_e32 v18, v34, v18
	ds_write2_b32 v37, v1, v0 offset0:126 offset1:189
	v_pack_b32_f16 v0, v27, v8
	v_pack_b32_f16 v4, v29, v9
	v_fma_f16 v2, v2, 2.0, -v33
	v_fma_f16 v34, v34, 2.0, -v18
	v_pack_b32_f16 v1, v10, v30
	ds_write2_b32 v15, v0, v4 offset0:118 offset1:181
	v_pack_b32_f16 v0, v11, v32
	v_pack_b32_f16 v3, v35, v3
	ds_write2_b32 v22, v1, v0 offset0:124 offset1:187
	v_pack_b32_f16 v1, v2, v34
	;; [unrolled: 3-line block ×3, first 2 shown]
	ds_write2_b32 v25, v0, v1 offset0:116 offset1:179
	s_waitcnt lgkmcnt(0)
	; wave barrier
	s_waitcnt lgkmcnt(0)
	ds_read2_b32 v[0:1], v37 offset1:98
	s_mov_b32 s12, 0x5bb804a5
	s_mov_b32 s13, 0x3f529372
	v_mad_u64_u32 v[3:4], s[0:1], s10, v14, 0
	s_waitcnt lgkmcnt(0)
	v_lshrrev_b32_e32 v9, 16, v0
	v_mul_f16_sdwa v2, v47, v9 dst_sel:DWORD dst_unused:UNUSED_PAD src0_sel:WORD_1 src1_sel:DWORD
	v_fma_f16 v2, v47, v0, v2
	v_cvt_f32_f16_e32 v2, v2
	s_movk_i32 s15, 0x1ff
	s_movk_i32 s10, 0xffe
	v_mul_f16_sdwa v0, v47, v0 dst_sel:DWORD dst_unused:UNUSED_PAD src0_sel:WORD_1 src1_sel:DWORD
	v_cvt_f64_f32_e32 v[5:6], v2
	v_mov_b32_e32 v2, v4
	v_mad_u64_u32 v[7:8], s[0:1], s11, v14, v[2:3]
	v_mul_f64 v[5:6], v[5:6], s[12:13]
	v_fma_f16 v0, v47, v9, -v0
	v_mov_b32_e32 v4, v7
	v_cvt_f32_f16_e32 v0, v0
	s_movk_i32 s11, 0x40f
	s_mov_b32 s14, 0x8000
	v_lshlrev_b64 v[3:4], 2, v[3:4]
	v_and_or_b32 v2, v6, s15, v5
	v_cmp_ne_u32_e64 s[0:1], 0, v2
	v_cndmask_b32_e64 v2, 0, 1, s[0:1]
	v_lshrrev_b32_e32 v5, 8, v6
	v_bfe_u32 v7, v6, 20, 11
	v_and_or_b32 v5, v5, s10, v2
	v_sub_u32_e32 v8, 0x3f1, v7
	v_or_b32_e32 v2, 0x1000, v5
	v_med3_i32 v8, v8, 0, 13
	v_lshrrev_b32_e32 v10, v8, v2
	v_lshlrev_b32_e32 v8, v8, v10
	v_cmp_ne_u32_e64 s[0:1], v8, v2
	v_cndmask_b32_e64 v2, 0, 1, s[0:1]
	v_or_b32_e32 v2, v10, v2
	v_add_u32_e32 v10, 0xfffffc10, v7
	v_lshl_or_b32 v7, v10, 12, v5
	v_cmp_gt_i32_e64 s[0:1], 1, v10
	v_cndmask_b32_e64 v2, v7, v2, s[0:1]
	v_and_b32_e32 v7, 7, v2
	v_cmp_lt_i32_e64 s[0:1], 5, v7
	v_cmp_eq_u32_e64 s[2:3], 3, v7
	v_cvt_f64_f32_e32 v[7:8], v0
	v_lshrrev_b32_e32 v2, 2, v2
	s_or_b64 s[0:1], s[2:3], s[0:1]
	v_addc_co_u32_e64 v9, s[0:1], 0, v2, s[0:1]
	v_mul_f64 v[7:8], v[7:8], s[12:13]
	v_mov_b32_e32 v2, 0x7c00
	v_cmp_gt_i32_e64 s[0:1], 31, v10
	v_cndmask_b32_e64 v0, v2, v9, s[0:1]
	v_cmp_ne_u32_e64 s[0:1], 0, v5
	v_cndmask_b32_e64 v5, 0, 1, s[0:1]
	v_lshl_or_b32 v5, v5, 9, v2
	v_cmp_eq_u32_e64 s[0:1], s11, v10
	v_cndmask_b32_e64 v0, v0, v5, s[0:1]
	v_lshrrev_b32_e32 v5, 16, v6
	v_and_or_b32 v9, v5, s14, v0
	v_and_or_b32 v0, v8, s15, v7
	v_cmp_ne_u32_e64 s[0:1], 0, v0
	v_cndmask_b32_e64 v0, 0, 1, s[0:1]
	v_lshrrev_b32_e32 v5, 8, v8
	v_bfe_u32 v6, v8, 20, 11
	v_and_or_b32 v0, v5, s10, v0
	v_sub_u32_e32 v7, 0x3f1, v6
	v_or_b32_e32 v5, 0x1000, v0
	v_med3_i32 v7, v7, 0, 13
	v_lshrrev_b32_e32 v10, v7, v5
	v_lshlrev_b32_e32 v7, v7, v10
	v_cmp_ne_u32_e64 s[0:1], v7, v5
	v_cndmask_b32_e64 v5, 0, 1, s[0:1]
	v_add_u32_e32 v7, 0xfffffc10, v6
	v_or_b32_e32 v5, v10, v5
	v_lshl_or_b32 v6, v7, 12, v0
	v_cmp_gt_i32_e64 s[0:1], 1, v7
	v_cndmask_b32_e64 v5, v6, v5, s[0:1]
	v_and_b32_e32 v6, 7, v5
	v_cmp_lt_i32_e64 s[0:1], 5, v6
	v_cmp_eq_u32_e64 s[2:3], 3, v6
	v_lshrrev_b32_e32 v5, 2, v5
	s_or_b64 s[0:1], s[2:3], s[0:1]
	v_addc_co_u32_e64 v5, s[0:1], 0, v5, s[0:1]
	v_cmp_gt_i32_e64 s[0:1], 31, v7
	v_cndmask_b32_e64 v10, v2, v5, s[0:1]
	v_cmp_ne_u32_e64 s[0:1], 0, v0
	v_cndmask_b32_e64 v0, 0, 1, s[0:1]
	v_mad_u64_u32 v[5:6], s[0:1], s8, v46, 0
	v_lshl_or_b32 v0, v0, 9, v2
	v_cmp_eq_u32_e64 s[0:1], s11, v7
	v_cndmask_b32_e64 v10, v10, v0, s[0:1]
	v_mov_b32_e32 v0, v6
	v_mad_u64_u32 v[6:7], s[0:1], s9, v46, v[0:1]
	v_lshrrev_b32_e32 v0, 16, v1
	v_mul_f16_sdwa v7, v45, v0 dst_sel:DWORD dst_unused:UNUSED_PAD src0_sel:WORD_1 src1_sel:DWORD
	v_fma_f16 v7, v45, v1, v7
	v_cvt_f32_f16_e32 v7, v7
	v_lshrrev_b32_e32 v8, 16, v8
	v_and_or_b32 v10, v8, s14, v10
	v_and_b32_e32 v9, 0xffff, v9
	v_cvt_f64_f32_e32 v[7:8], v7
	v_lshl_or_b32 v9, v10, 16, v9
	v_mov_b32_e32 v10, s7
	v_add_co_u32_e64 v11, s[0:1], s6, v3
	v_mul_f64 v[7:8], v[7:8], s[12:13]
	v_addc_co_u32_e64 v10, s[0:1], v10, v4, s[0:1]
	v_lshlrev_b64 v[3:4], 2, v[5:6]
	v_mul_f16_sdwa v1, v45, v1 dst_sel:DWORD dst_unused:UNUSED_PAD src0_sel:WORD_1 src1_sel:DWORD
	v_add_co_u32_e64 v3, s[0:1], v11, v3
	v_addc_co_u32_e64 v4, s[0:1], v10, v4, s[0:1]
	v_and_or_b32 v5, v8, s15, v7
	v_cmp_ne_u32_e64 s[0:1], 0, v5
	v_fma_f16 v0, v45, v0, -v1
	v_cndmask_b32_e64 v5, 0, 1, s[0:1]
	v_lshrrev_b32_e32 v6, 8, v8
	v_bfe_u32 v7, v8, 20, 11
	v_cvt_f32_f16_e32 v0, v0
	global_store_dword v[3:4], v9, off
	v_and_or_b32 v5, v6, s10, v5
	v_sub_u32_e32 v9, 0x3f1, v7
	v_or_b32_e32 v6, 0x1000, v5
	v_med3_i32 v9, v9, 0, 13
	v_lshrrev_b32_e32 v10, v9, v6
	v_lshlrev_b32_e32 v9, v9, v10
	v_cvt_f64_f32_e32 v[0:1], v0
	v_cmp_ne_u32_e64 s[0:1], v9, v6
	v_cndmask_b32_e64 v6, 0, 1, s[0:1]
	v_add_u32_e32 v7, 0xfffffc10, v7
	v_or_b32_e32 v6, v10, v6
	v_lshl_or_b32 v9, v7, 12, v5
	v_cmp_gt_i32_e64 s[0:1], 1, v7
	v_cndmask_b32_e64 v6, v9, v6, s[0:1]
	v_mul_f64 v[0:1], v[0:1], s[12:13]
	v_and_b32_e32 v9, 7, v6
	v_cmp_lt_i32_e64 s[0:1], 5, v9
	v_cmp_eq_u32_e64 s[2:3], 3, v9
	v_lshrrev_b32_e32 v6, 2, v6
	s_or_b64 s[0:1], s[2:3], s[0:1]
	v_addc_co_u32_e64 v6, s[0:1], 0, v6, s[0:1]
	v_cmp_gt_i32_e64 s[0:1], 31, v7
	v_cndmask_b32_e64 v6, v2, v6, s[0:1]
	v_cmp_ne_u32_e64 s[0:1], 0, v5
	v_cndmask_b32_e64 v5, 0, 1, s[0:1]
	v_lshl_or_b32 v5, v5, 9, v2
	v_cmp_eq_u32_e64 s[0:1], s11, v7
	v_and_or_b32 v0, v1, s15, v0
	v_cndmask_b32_e64 v5, v6, v5, s[0:1]
	v_lshrrev_b32_e32 v6, 16, v8
	v_cmp_ne_u32_e64 s[0:1], 0, v0
	v_and_or_b32 v7, v6, s14, v5
	v_cndmask_b32_e64 v0, 0, 1, s[0:1]
	v_lshrrev_b32_e32 v5, 8, v1
	v_bfe_u32 v6, v1, 20, 11
	v_and_or_b32 v0, v5, s10, v0
	v_sub_u32_e32 v8, 0x3f1, v6
	v_or_b32_e32 v5, 0x1000, v0
	v_med3_i32 v8, v8, 0, 13
	v_lshrrev_b32_e32 v9, v8, v5
	v_lshlrev_b32_e32 v8, v8, v9
	v_cmp_ne_u32_e64 s[0:1], v8, v5
	v_cndmask_b32_e64 v5, 0, 1, s[0:1]
	v_add_u32_e32 v8, 0xfffffc10, v6
	v_or_b32_e32 v5, v9, v5
	v_lshl_or_b32 v6, v8, 12, v0
	v_cmp_gt_i32_e64 s[0:1], 1, v8
	v_cndmask_b32_e64 v5, v6, v5, s[0:1]
	v_and_b32_e32 v6, 7, v5
	v_cmp_lt_i32_e64 s[0:1], 5, v6
	v_cmp_eq_u32_e64 s[2:3], 3, v6
	v_lshrrev_b32_e32 v5, 2, v5
	s_or_b64 s[0:1], s[2:3], s[0:1]
	v_addc_co_u32_e64 v5, s[0:1], 0, v5, s[0:1]
	v_cmp_gt_i32_e64 s[0:1], 31, v8
	v_cndmask_b32_e64 v9, v2, v5, s[0:1]
	ds_read2_b32 v[5:6], v22 offset0:68 offset1:166
	v_cmp_ne_u32_e64 s[0:1], 0, v0
	v_cndmask_b32_e64 v0, 0, 1, s[0:1]
	v_lshl_or_b32 v0, v0, 9, v2
	v_cmp_eq_u32_e64 s[0:1], s11, v8
	v_cndmask_b32_e64 v0, v9, v0, s[0:1]
	v_lshrrev_b32_e32 v1, 16, v1
	s_waitcnt lgkmcnt(0)
	v_lshrrev_b32_e32 v9, 16, v5
	v_and_or_b32 v8, v1, s14, v0
	v_mul_f16_sdwa v0, v44, v9 dst_sel:DWORD dst_unused:UNUSED_PAD src0_sel:WORD_1 src1_sel:DWORD
	v_fma_f16 v0, v44, v5, v0
	v_cvt_f32_f16_e32 v0, v0
	v_and_b32_e32 v7, 0xffff, v7
	v_lshl_or_b32 v10, v8, 16, v7
	s_mul_i32 s0, s9, 0x62
	v_cvt_f64_f32_e32 v[0:1], v0
	s_mul_hi_u32 s1, s8, 0x62
	s_add_i32 s1, s1, s0
	s_mul_i32 s0, s8, 0x62
	v_mul_f64 v[7:8], v[0:1], s[12:13]
	s_lshl_b64 s[6:7], s[0:1], 2
	v_mov_b32_e32 v1, s7
	v_add_co_u32_e64 v3, s[0:1], s6, v3
	v_addc_co_u32_e64 v4, s[0:1], v4, v1, s[0:1]
	global_store_dword v[3:4], v10, off
	v_and_or_b32 v0, v8, s15, v7
	v_cmp_ne_u32_e64 s[0:1], 0, v0
	v_cndmask_b32_e64 v0, 0, 1, s[0:1]
	v_lshrrev_b32_e32 v7, 8, v8
	v_bfe_u32 v10, v8, 20, 11
	v_and_or_b32 v0, v7, s10, v0
	v_sub_u32_e32 v11, 0x3f1, v10
	v_or_b32_e32 v7, 0x1000, v0
	v_med3_i32 v11, v11, 0, 13
	v_lshrrev_b32_e32 v14, v11, v7
	v_lshlrev_b32_e32 v11, v11, v14
	v_mul_f16_sdwa v5, v44, v5 dst_sel:DWORD dst_unused:UNUSED_PAD src0_sel:WORD_1 src1_sel:DWORD
	v_cmp_ne_u32_e64 s[0:1], v11, v7
	v_fma_f16 v5, v44, v9, -v5
	v_cndmask_b32_e64 v7, 0, 1, s[0:1]
	v_add_u32_e32 v11, 0xfffffc10, v10
	v_cvt_f32_f16_e32 v5, v5
	v_or_b32_e32 v7, v14, v7
	v_lshl_or_b32 v10, v11, 12, v0
	v_cmp_gt_i32_e64 s[0:1], 1, v11
	v_cndmask_b32_e64 v7, v10, v7, s[0:1]
	v_and_b32_e32 v10, 7, v7
	v_cmp_lt_i32_e64 s[0:1], 5, v10
	v_cmp_eq_u32_e64 s[2:3], 3, v10
	v_cvt_f64_f32_e32 v[9:10], v5
	v_lshrrev_b32_e32 v7, 2, v7
	s_or_b64 s[0:1], s[2:3], s[0:1]
	v_addc_co_u32_e64 v5, s[0:1], 0, v7, s[0:1]
	v_mul_f64 v[9:10], v[9:10], s[12:13]
	v_cmp_gt_i32_e64 s[0:1], 31, v11
	v_cndmask_b32_e64 v5, v2, v5, s[0:1]
	v_cmp_ne_u32_e64 s[0:1], 0, v0
	v_cndmask_b32_e64 v0, 0, 1, s[0:1]
	v_lshl_or_b32 v0, v0, 9, v2
	v_cmp_eq_u32_e64 s[0:1], s11, v11
	v_cndmask_b32_e64 v0, v5, v0, s[0:1]
	v_lshrrev_b32_e32 v5, 16, v8
	v_and_or_b32 v0, v5, s14, v0
	v_and_or_b32 v5, v10, s15, v9
	v_cmp_ne_u32_e64 s[0:1], 0, v5
	v_cndmask_b32_e64 v5, 0, 1, s[0:1]
	v_lshrrev_b32_e32 v7, 8, v10
	v_bfe_u32 v8, v10, 20, 11
	v_and_or_b32 v5, v7, s10, v5
	v_sub_u32_e32 v9, 0x3f1, v8
	v_or_b32_e32 v7, 0x1000, v5
	v_med3_i32 v9, v9, 0, 13
	v_lshrrev_b32_e32 v11, v9, v7
	v_lshlrev_b32_e32 v9, v9, v11
	v_cmp_ne_u32_e64 s[0:1], v9, v7
	v_cndmask_b32_e64 v7, 0, 1, s[0:1]
	v_add_u32_e32 v9, 0xfffffc10, v8
	v_or_b32_e32 v7, v11, v7
	v_lshl_or_b32 v8, v9, 12, v5
	v_cmp_gt_i32_e64 s[0:1], 1, v9
	v_cndmask_b32_e64 v7, v8, v7, s[0:1]
	v_and_b32_e32 v8, 7, v7
	v_cmp_lt_i32_e64 s[0:1], 5, v8
	v_cmp_eq_u32_e64 s[2:3], 3, v8
	v_lshrrev_b32_e32 v7, 2, v7
	s_or_b64 s[0:1], s[2:3], s[0:1]
	v_addc_co_u32_e64 v7, s[0:1], 0, v7, s[0:1]
	v_cmp_gt_i32_e64 s[0:1], 31, v9
	v_lshrrev_b32_e32 v14, 16, v6
	v_cndmask_b32_e64 v11, v2, v7, s[0:1]
	v_mul_f16_sdwa v7, v43, v14 dst_sel:DWORD dst_unused:UNUSED_PAD src0_sel:WORD_1 src1_sel:DWORD
	v_fma_f16 v7, v43, v6, v7
	v_cvt_f32_f16_e32 v7, v7
	v_cmp_ne_u32_e64 s[0:1], 0, v5
	v_cndmask_b32_e64 v5, 0, 1, s[0:1]
	v_lshl_or_b32 v5, v5, 9, v2
	v_cvt_f64_f32_e32 v[7:8], v7
	v_cmp_eq_u32_e64 s[0:1], s11, v9
	v_cndmask_b32_e64 v5, v11, v5, s[0:1]
	v_lshrrev_b32_e32 v9, 16, v10
	v_mul_f64 v[7:8], v[7:8], s[12:13]
	v_and_or_b32 v5, v9, s14, v5
	v_and_b32_e32 v0, 0xffff, v0
	v_add_co_u32_e64 v3, s[0:1], s6, v3
	v_lshl_or_b32 v0, v5, 16, v0
	v_addc_co_u32_e64 v4, s[0:1], v4, v1, s[0:1]
	global_store_dword v[3:4], v0, off
	v_and_or_b32 v0, v8, s15, v7
	v_cmp_ne_u32_e64 s[0:1], 0, v0
	v_cndmask_b32_e64 v0, 0, 1, s[0:1]
	v_lshrrev_b32_e32 v5, 8, v8
	v_bfe_u32 v7, v8, 20, 11
	v_and_or_b32 v0, v5, s10, v0
	v_sub_u32_e32 v9, 0x3f1, v7
	v_or_b32_e32 v5, 0x1000, v0
	v_med3_i32 v9, v9, 0, 13
	v_lshrrev_b32_e32 v10, v9, v5
	v_lshlrev_b32_e32 v9, v9, v10
	v_mul_f16_sdwa v6, v43, v6 dst_sel:DWORD dst_unused:UNUSED_PAD src0_sel:WORD_1 src1_sel:DWORD
	v_cmp_ne_u32_e64 s[0:1], v9, v5
	v_fma_f16 v6, v43, v14, -v6
	v_cndmask_b32_e64 v5, 0, 1, s[0:1]
	v_add_u32_e32 v7, 0xfffffc10, v7
	v_cvt_f32_f16_e32 v6, v6
	v_or_b32_e32 v5, v10, v5
	v_lshl_or_b32 v9, v7, 12, v0
	v_cmp_gt_i32_e64 s[0:1], 1, v7
	v_cndmask_b32_e64 v5, v9, v5, s[0:1]
	v_and_b32_e32 v9, 7, v5
	v_cmp_lt_i32_e64 s[0:1], 5, v9
	v_cmp_eq_u32_e64 s[2:3], 3, v9
	v_lshrrev_b32_e32 v9, 2, v5
	v_cvt_f64_f32_e32 v[5:6], v6
	s_or_b64 s[0:1], s[2:3], s[0:1]
	v_addc_co_u32_e64 v9, s[0:1], 0, v9, s[0:1]
	v_mul_f64 v[5:6], v[5:6], s[12:13]
	v_cmp_gt_i32_e64 s[0:1], 31, v7
	v_cndmask_b32_e64 v9, v2, v9, s[0:1]
	v_cmp_ne_u32_e64 s[0:1], 0, v0
	v_cndmask_b32_e64 v0, 0, 1, s[0:1]
	v_lshl_or_b32 v0, v0, 9, v2
	v_cmp_eq_u32_e64 s[0:1], s11, v7
	v_cndmask_b32_e64 v0, v9, v0, s[0:1]
	v_and_or_b32 v5, v6, s15, v5
	v_lshrrev_b32_e32 v7, 16, v8
	v_cmp_ne_u32_e64 s[0:1], 0, v5
	v_and_or_b32 v0, v7, s14, v0
	v_cndmask_b32_e64 v5, 0, 1, s[0:1]
	v_lshrrev_b32_e32 v7, 8, v6
	v_bfe_u32 v8, v6, 20, 11
	v_and_or_b32 v5, v7, s10, v5
	v_sub_u32_e32 v9, 0x3f1, v8
	v_or_b32_e32 v7, 0x1000, v5
	v_med3_i32 v9, v9, 0, 13
	v_lshrrev_b32_e32 v10, v9, v7
	v_lshlrev_b32_e32 v9, v9, v10
	v_cmp_ne_u32_e64 s[0:1], v9, v7
	v_cndmask_b32_e64 v7, 0, 1, s[0:1]
	v_add_u32_e32 v11, 0xfffffc10, v8
	v_or_b32_e32 v7, v10, v7
	v_lshl_or_b32 v8, v11, 12, v5
	v_cmp_gt_i32_e64 s[0:1], 1, v11
	v_cndmask_b32_e64 v7, v8, v7, s[0:1]
	v_and_b32_e32 v8, 7, v7
	v_cmp_lt_i32_e64 s[0:1], 5, v8
	v_cmp_eq_u32_e64 s[2:3], 3, v8
	v_lshrrev_b32_e32 v9, 2, v7
	ds_read2_b32 v[7:8], v21 offset0:136 offset1:234
	s_or_b64 s[0:1], s[2:3], s[0:1]
	v_addc_co_u32_e64 v9, s[0:1], 0, v9, s[0:1]
	v_cmp_gt_i32_e64 s[0:1], 31, v11
	s_waitcnt lgkmcnt(0)
	v_lshrrev_b32_e32 v17, 16, v7
	v_cndmask_b32_e64 v14, v2, v9, s[0:1]
	v_mul_f16_sdwa v9, v42, v17 dst_sel:DWORD dst_unused:UNUSED_PAD src0_sel:WORD_1 src1_sel:DWORD
	v_fma_f16 v9, v42, v7, v9
	v_cvt_f32_f16_e32 v9, v9
	v_cmp_ne_u32_e64 s[0:1], 0, v5
	v_cndmask_b32_e64 v5, 0, 1, s[0:1]
	v_lshl_or_b32 v5, v5, 9, v2
	v_cvt_f64_f32_e32 v[9:10], v9
	v_cmp_eq_u32_e64 s[0:1], s11, v11
	v_cndmask_b32_e64 v5, v14, v5, s[0:1]
	v_lshrrev_b32_e32 v6, 16, v6
	v_and_or_b32 v11, v6, s14, v5
	v_mul_f64 v[5:6], v[9:10], s[12:13]
	v_and_b32_e32 v0, 0xffff, v0
	v_add_co_u32_e64 v3, s[0:1], s6, v3
	v_lshl_or_b32 v0, v11, 16, v0
	v_addc_co_u32_e64 v4, s[0:1], v4, v1, s[0:1]
	global_store_dword v[3:4], v0, off
	v_and_or_b32 v0, v6, s15, v5
	v_cmp_ne_u32_e64 s[0:1], 0, v0
	v_cndmask_b32_e64 v0, 0, 1, s[0:1]
	v_lshrrev_b32_e32 v5, 8, v6
	v_bfe_u32 v9, v6, 20, 11
	v_and_or_b32 v0, v5, s10, v0
	v_sub_u32_e32 v10, 0x3f1, v9
	v_or_b32_e32 v5, 0x1000, v0
	v_med3_i32 v10, v10, 0, 13
	v_lshrrev_b32_e32 v11, v10, v5
	v_lshlrev_b32_e32 v10, v10, v11
	v_cmp_ne_u32_e64 s[0:1], v10, v5
	v_mul_f16_sdwa v7, v42, v7 dst_sel:DWORD dst_unused:UNUSED_PAD src0_sel:WORD_1 src1_sel:DWORD
	v_cndmask_b32_e64 v5, 0, 1, s[0:1]
	v_fma_f16 v7, v42, v17, -v7
	v_or_b32_e32 v5, v11, v5
	v_add_u32_e32 v11, 0xfffffc10, v9
	v_cvt_f32_f16_e32 v7, v7
	v_lshl_or_b32 v9, v11, 12, v0
	v_cmp_gt_i32_e64 s[0:1], 1, v11
	v_cndmask_b32_e64 v5, v9, v5, s[0:1]
	v_and_b32_e32 v9, 7, v5
	v_cmp_lt_i32_e64 s[0:1], 5, v9
	v_cmp_eq_u32_e64 s[2:3], 3, v9
	v_cvt_f64_f32_e32 v[9:10], v7
	v_lshrrev_b32_e32 v5, 2, v5
	s_or_b64 s[0:1], s[2:3], s[0:1]
	v_addc_co_u32_e64 v5, s[0:1], 0, v5, s[0:1]
	v_mul_f64 v[9:10], v[9:10], s[12:13]
	v_cmp_gt_i32_e64 s[0:1], 31, v11
	v_cndmask_b32_e64 v5, v2, v5, s[0:1]
	v_cmp_ne_u32_e64 s[0:1], 0, v0
	v_cndmask_b32_e64 v0, 0, 1, s[0:1]
	v_lshl_or_b32 v0, v0, 9, v2
	v_cmp_eq_u32_e64 s[0:1], s11, v11
	v_cndmask_b32_e64 v0, v5, v0, s[0:1]
	v_lshrrev_b32_e32 v5, 16, v6
	v_and_or_b32 v0, v5, s14, v0
	v_and_or_b32 v5, v10, s15, v9
	v_cmp_ne_u32_e64 s[0:1], 0, v5
	v_cndmask_b32_e64 v5, 0, 1, s[0:1]
	v_lshrrev_b32_e32 v6, 8, v10
	v_bfe_u32 v7, v10, 20, 11
	v_and_or_b32 v5, v6, s10, v5
	v_sub_u32_e32 v9, 0x3f1, v7
	v_or_b32_e32 v6, 0x1000, v5
	v_med3_i32 v9, v9, 0, 13
	v_lshrrev_b32_e32 v11, v9, v6
	v_lshlrev_b32_e32 v9, v9, v11
	v_cmp_ne_u32_e64 s[0:1], v9, v6
	v_cndmask_b32_e64 v6, 0, 1, s[0:1]
	v_add_u32_e32 v7, 0xfffffc10, v7
	v_or_b32_e32 v6, v11, v6
	v_lshl_or_b32 v9, v7, 12, v5
	v_cmp_gt_i32_e64 s[0:1], 1, v7
	v_cndmask_b32_e64 v6, v9, v6, s[0:1]
	v_and_b32_e32 v9, 7, v6
	v_cmp_lt_i32_e64 s[0:1], 5, v9
	v_cmp_eq_u32_e64 s[2:3], 3, v9
	v_lshrrev_b32_e32 v6, 2, v6
	s_or_b64 s[0:1], s[2:3], s[0:1]
	v_addc_co_u32_e64 v6, s[0:1], 0, v6, s[0:1]
	v_cmp_gt_i32_e64 s[0:1], 31, v7
	v_lshrrev_b32_e32 v11, 16, v8
	v_cndmask_b32_e64 v9, v2, v6, s[0:1]
	v_mul_f16_sdwa v6, v41, v11 dst_sel:DWORD dst_unused:UNUSED_PAD src0_sel:WORD_1 src1_sel:DWORD
	v_fma_f16 v6, v41, v8, v6
	v_cvt_f32_f16_e32 v6, v6
	v_cmp_ne_u32_e64 s[0:1], 0, v5
	v_cndmask_b32_e64 v5, 0, 1, s[0:1]
	v_lshl_or_b32 v14, v5, 9, v2
	v_cvt_f64_f32_e32 v[5:6], v6
	v_cmp_eq_u32_e64 s[0:1], s11, v7
	v_cndmask_b32_e64 v7, v9, v14, s[0:1]
	v_lshrrev_b32_e32 v9, 16, v10
	v_mul_f64 v[5:6], v[5:6], s[12:13]
	v_and_or_b32 v7, v9, s14, v7
	v_and_b32_e32 v0, 0xffff, v0
	v_add_co_u32_e64 v3, s[0:1], s6, v3
	v_lshl_or_b32 v0, v7, 16, v0
	v_addc_co_u32_e64 v4, s[0:1], v4, v1, s[0:1]
	global_store_dword v[3:4], v0, off
	v_and_or_b32 v0, v6, s15, v5
	v_cmp_ne_u32_e64 s[0:1], 0, v0
	v_cndmask_b32_e64 v0, 0, 1, s[0:1]
	v_lshrrev_b32_e32 v5, 8, v6
	v_bfe_u32 v7, v6, 20, 11
	v_and_or_b32 v0, v5, s10, v0
	v_sub_u32_e32 v9, 0x3f1, v7
	v_or_b32_e32 v5, 0x1000, v0
	v_med3_i32 v9, v9, 0, 13
	v_lshrrev_b32_e32 v10, v9, v5
	v_lshlrev_b32_e32 v9, v9, v10
	v_mul_f16_sdwa v8, v41, v8 dst_sel:DWORD dst_unused:UNUSED_PAD src0_sel:WORD_1 src1_sel:DWORD
	v_cmp_ne_u32_e64 s[0:1], v9, v5
	v_fma_f16 v8, v41, v11, -v8
	v_cndmask_b32_e64 v5, 0, 1, s[0:1]
	v_add_u32_e32 v9, 0xfffffc10, v7
	v_cvt_f32_f16_e32 v8, v8
	v_or_b32_e32 v5, v10, v5
	v_lshl_or_b32 v7, v9, 12, v0
	v_cmp_gt_i32_e64 s[0:1], 1, v9
	v_cndmask_b32_e64 v5, v7, v5, s[0:1]
	v_and_b32_e32 v7, 7, v5
	v_cmp_lt_i32_e64 s[0:1], 5, v7
	v_cmp_eq_u32_e64 s[2:3], 3, v7
	v_cvt_f64_f32_e32 v[7:8], v8
	v_lshrrev_b32_e32 v5, 2, v5
	s_or_b64 s[0:1], s[2:3], s[0:1]
	v_addc_co_u32_e64 v5, s[0:1], 0, v5, s[0:1]
	v_mul_f64 v[7:8], v[7:8], s[12:13]
	v_cmp_gt_i32_e64 s[0:1], 31, v9
	v_cndmask_b32_e64 v5, v2, v5, s[0:1]
	v_cmp_ne_u32_e64 s[0:1], 0, v0
	v_cndmask_b32_e64 v0, 0, 1, s[0:1]
	v_lshl_or_b32 v0, v0, 9, v2
	v_cmp_eq_u32_e64 s[0:1], s11, v9
	v_cndmask_b32_e64 v0, v5, v0, s[0:1]
	v_lshrrev_b32_e32 v5, 16, v6
	v_and_or_b32 v0, v5, s14, v0
	v_and_or_b32 v5, v8, s15, v7
	v_cmp_ne_u32_e64 s[0:1], 0, v5
	v_cndmask_b32_e64 v5, 0, 1, s[0:1]
	v_lshrrev_b32_e32 v6, 8, v8
	v_and_or_b32 v7, v6, s10, v5
	v_bfe_u32 v6, v8, 20, 11
	v_sub_u32_e32 v9, 0x3f1, v6
	v_or_b32_e32 v5, 0x1000, v7
	v_med3_i32 v9, v9, 0, 13
	v_lshrrev_b32_e32 v10, v9, v5
	v_lshlrev_b32_e32 v9, v9, v10
	v_cmp_ne_u32_e64 s[0:1], v9, v5
	v_cndmask_b32_e64 v5, 0, 1, s[0:1]
	v_add_u32_e32 v11, 0xfffffc10, v6
	v_or_b32_e32 v5, v10, v5
	v_lshl_or_b32 v6, v11, 12, v7
	v_cmp_gt_i32_e64 s[0:1], 1, v11
	v_cndmask_b32_e64 v5, v6, v5, s[0:1]
	v_and_b32_e32 v6, 7, v5
	v_cmp_lt_i32_e64 s[0:1], 5, v6
	v_cmp_eq_u32_e64 s[2:3], 3, v6
	v_lshrrev_b32_e32 v9, 2, v5
	ds_read2_b32 v[5:6], v15 offset0:76 offset1:174
	s_or_b64 s[0:1], s[2:3], s[0:1]
	v_addc_co_u32_e64 v9, s[0:1], 0, v9, s[0:1]
	v_cmp_gt_i32_e64 s[0:1], 31, v11
	s_waitcnt lgkmcnt(0)
	v_lshrrev_b32_e32 v17, 16, v5
	v_cndmask_b32_e64 v14, v2, v9, s[0:1]
	v_mul_f16_sdwa v9, v40, v17 dst_sel:DWORD dst_unused:UNUSED_PAD src0_sel:WORD_1 src1_sel:DWORD
	v_fma_f16 v9, v40, v5, v9
	v_cvt_f32_f16_e32 v9, v9
	v_cmp_ne_u32_e64 s[0:1], 0, v7
	v_cndmask_b32_e64 v7, 0, 1, s[0:1]
	v_lshl_or_b32 v7, v7, 9, v2
	v_cvt_f64_f32_e32 v[9:10], v9
	v_cmp_eq_u32_e64 s[0:1], s11, v11
	v_cndmask_b32_e64 v7, v14, v7, s[0:1]
	v_lshrrev_b32_e32 v8, 16, v8
	v_and_or_b32 v11, v8, s14, v7
	v_mul_f64 v[7:8], v[9:10], s[12:13]
	v_and_b32_e32 v0, 0xffff, v0
	v_add_co_u32_e64 v3, s[0:1], s6, v3
	v_lshl_or_b32 v0, v11, 16, v0
	v_addc_co_u32_e64 v4, s[0:1], v4, v1, s[0:1]
	global_store_dword v[3:4], v0, off
	v_and_or_b32 v0, v8, s15, v7
	v_cmp_ne_u32_e64 s[0:1], 0, v0
	v_cndmask_b32_e64 v0, 0, 1, s[0:1]
	v_lshrrev_b32_e32 v7, 8, v8
	v_bfe_u32 v9, v8, 20, 11
	v_and_or_b32 v0, v7, s10, v0
	v_sub_u32_e32 v10, 0x3f1, v9
	v_or_b32_e32 v7, 0x1000, v0
	v_med3_i32 v10, v10, 0, 13
	v_lshrrev_b32_e32 v11, v10, v7
	v_lshlrev_b32_e32 v10, v10, v11
	v_cmp_ne_u32_e64 s[0:1], v10, v7
	v_mul_f16_sdwa v5, v40, v5 dst_sel:DWORD dst_unused:UNUSED_PAD src0_sel:WORD_1 src1_sel:DWORD
	v_cndmask_b32_e64 v7, 0, 1, s[0:1]
	v_fma_f16 v5, v40, v17, -v5
	v_or_b32_e32 v7, v11, v7
	v_add_u32_e32 v11, 0xfffffc10, v9
	v_cvt_f32_f16_e32 v5, v5
	v_lshl_or_b32 v9, v11, 12, v0
	v_cmp_gt_i32_e64 s[0:1], 1, v11
	v_cndmask_b32_e64 v7, v9, v7, s[0:1]
	v_and_b32_e32 v9, 7, v7
	v_cmp_lt_i32_e64 s[0:1], 5, v9
	v_cmp_eq_u32_e64 s[2:3], 3, v9
	v_cvt_f64_f32_e32 v[9:10], v5
	v_lshrrev_b32_e32 v7, 2, v7
	s_or_b64 s[0:1], s[2:3], s[0:1]
	v_addc_co_u32_e64 v5, s[0:1], 0, v7, s[0:1]
	v_mul_f64 v[9:10], v[9:10], s[12:13]
	v_cmp_gt_i32_e64 s[0:1], 31, v11
	v_cndmask_b32_e64 v5, v2, v5, s[0:1]
	v_cmp_ne_u32_e64 s[0:1], 0, v0
	v_cndmask_b32_e64 v0, 0, 1, s[0:1]
	v_lshl_or_b32 v0, v0, 9, v2
	v_cmp_eq_u32_e64 s[0:1], s11, v11
	v_cndmask_b32_e64 v0, v5, v0, s[0:1]
	v_lshrrev_b32_e32 v5, 16, v8
	v_and_or_b32 v0, v5, s14, v0
	v_and_or_b32 v5, v10, s15, v9
	v_cmp_ne_u32_e64 s[0:1], 0, v5
	v_cndmask_b32_e64 v5, 0, 1, s[0:1]
	v_lshrrev_b32_e32 v7, 8, v10
	v_bfe_u32 v8, v10, 20, 11
	v_and_or_b32 v5, v7, s10, v5
	v_sub_u32_e32 v9, 0x3f1, v8
	v_or_b32_e32 v7, 0x1000, v5
	v_med3_i32 v9, v9, 0, 13
	v_lshrrev_b32_e32 v11, v9, v7
	v_lshlrev_b32_e32 v9, v9, v11
	v_cmp_ne_u32_e64 s[0:1], v9, v7
	v_cndmask_b32_e64 v7, 0, 1, s[0:1]
	v_add_u32_e32 v9, 0xfffffc10, v8
	v_or_b32_e32 v7, v11, v7
	v_lshl_or_b32 v8, v9, 12, v5
	v_cmp_gt_i32_e64 s[0:1], 1, v9
	v_cndmask_b32_e64 v7, v8, v7, s[0:1]
	v_and_b32_e32 v8, 7, v7
	v_cmp_lt_i32_e64 s[0:1], 5, v8
	v_cmp_eq_u32_e64 s[2:3], 3, v8
	v_lshrrev_b32_e32 v7, 2, v7
	s_or_b64 s[0:1], s[2:3], s[0:1]
	v_addc_co_u32_e64 v7, s[0:1], 0, v7, s[0:1]
	v_cmp_gt_i32_e64 s[0:1], 31, v9
	v_lshrrev_b32_e32 v14, 16, v6
	v_cndmask_b32_e64 v11, v2, v7, s[0:1]
	v_mul_f16_sdwa v7, v39, v14 dst_sel:DWORD dst_unused:UNUSED_PAD src0_sel:WORD_1 src1_sel:DWORD
	v_fma_f16 v7, v39, v6, v7
	v_cvt_f32_f16_e32 v7, v7
	v_cmp_ne_u32_e64 s[0:1], 0, v5
	v_cndmask_b32_e64 v5, 0, 1, s[0:1]
	v_lshl_or_b32 v5, v5, 9, v2
	v_cvt_f64_f32_e32 v[7:8], v7
	v_cmp_eq_u32_e64 s[0:1], s11, v9
	v_cndmask_b32_e64 v5, v11, v5, s[0:1]
	v_lshrrev_b32_e32 v9, 16, v10
	v_mul_f64 v[7:8], v[7:8], s[12:13]
	v_and_or_b32 v5, v9, s14, v5
	v_and_b32_e32 v0, 0xffff, v0
	v_add_co_u32_e64 v3, s[0:1], s6, v3
	v_lshl_or_b32 v0, v5, 16, v0
	v_addc_co_u32_e64 v4, s[0:1], v4, v1, s[0:1]
	global_store_dword v[3:4], v0, off
	v_and_or_b32 v0, v8, s15, v7
	v_cmp_ne_u32_e64 s[0:1], 0, v0
	v_cndmask_b32_e64 v0, 0, 1, s[0:1]
	v_lshrrev_b32_e32 v5, 8, v8
	v_bfe_u32 v7, v8, 20, 11
	v_and_or_b32 v0, v5, s10, v0
	v_sub_u32_e32 v9, 0x3f1, v7
	v_or_b32_e32 v5, 0x1000, v0
	v_med3_i32 v9, v9, 0, 13
	v_lshrrev_b32_e32 v10, v9, v5
	v_lshlrev_b32_e32 v9, v9, v10
	v_mul_f16_sdwa v6, v39, v6 dst_sel:DWORD dst_unused:UNUSED_PAD src0_sel:WORD_1 src1_sel:DWORD
	v_cmp_ne_u32_e64 s[0:1], v9, v5
	v_fma_f16 v6, v39, v14, -v6
	v_cndmask_b32_e64 v5, 0, 1, s[0:1]
	v_add_u32_e32 v7, 0xfffffc10, v7
	v_cvt_f32_f16_e32 v6, v6
	v_or_b32_e32 v5, v10, v5
	v_lshl_or_b32 v9, v7, 12, v0
	v_cmp_gt_i32_e64 s[0:1], 1, v7
	v_cndmask_b32_e64 v5, v9, v5, s[0:1]
	v_and_b32_e32 v9, 7, v5
	v_cmp_lt_i32_e64 s[0:1], 5, v9
	v_cmp_eq_u32_e64 s[2:3], 3, v9
	v_lshrrev_b32_e32 v9, 2, v5
	v_cvt_f64_f32_e32 v[5:6], v6
	s_or_b64 s[0:1], s[2:3], s[0:1]
	v_addc_co_u32_e64 v9, s[0:1], 0, v9, s[0:1]
	v_mul_f64 v[5:6], v[5:6], s[12:13]
	v_cmp_gt_i32_e64 s[0:1], 31, v7
	v_cndmask_b32_e64 v9, v2, v9, s[0:1]
	v_cmp_ne_u32_e64 s[0:1], 0, v0
	v_cndmask_b32_e64 v0, 0, 1, s[0:1]
	v_lshl_or_b32 v0, v0, 9, v2
	v_cmp_eq_u32_e64 s[0:1], s11, v7
	v_cndmask_b32_e64 v0, v9, v0, s[0:1]
	v_and_or_b32 v5, v6, s15, v5
	v_lshrrev_b32_e32 v7, 16, v8
	v_cmp_ne_u32_e64 s[0:1], 0, v5
	v_and_or_b32 v0, v7, s14, v0
	v_cndmask_b32_e64 v5, 0, 1, s[0:1]
	v_lshrrev_b32_e32 v7, 8, v6
	v_bfe_u32 v8, v6, 20, 11
	v_and_or_b32 v5, v7, s10, v5
	v_sub_u32_e32 v9, 0x3f1, v8
	v_or_b32_e32 v7, 0x1000, v5
	v_med3_i32 v9, v9, 0, 13
	v_lshrrev_b32_e32 v10, v9, v7
	v_lshlrev_b32_e32 v9, v9, v10
	v_cmp_ne_u32_e64 s[0:1], v9, v7
	v_cndmask_b32_e64 v7, 0, 1, s[0:1]
	v_add_u32_e32 v9, 0xfffffc10, v8
	v_or_b32_e32 v7, v10, v7
	v_lshl_or_b32 v8, v9, 12, v5
	v_cmp_gt_i32_e64 s[0:1], 1, v9
	v_cndmask_b32_e64 v7, v8, v7, s[0:1]
	ds_read_b32 v10, v37 offset:3136
	v_and_b32_e32 v8, 7, v7
	v_cmp_lt_i32_e64 s[0:1], 5, v8
	v_cmp_eq_u32_e64 s[2:3], 3, v8
	v_lshrrev_b32_e32 v7, 2, v7
	s_or_b64 s[0:1], s[2:3], s[0:1]
	v_addc_co_u32_e64 v7, s[0:1], 0, v7, s[0:1]
	v_cmp_gt_i32_e64 s[0:1], 31, v9
	s_waitcnt lgkmcnt(0)
	v_lshrrev_b32_e32 v14, 16, v10
	v_cndmask_b32_e64 v11, v2, v7, s[0:1]
	v_mul_f16_sdwa v7, v38, v14 dst_sel:DWORD dst_unused:UNUSED_PAD src0_sel:WORD_1 src1_sel:DWORD
	v_fma_f16 v7, v38, v10, v7
	v_cvt_f32_f16_e32 v7, v7
	v_cmp_ne_u32_e64 s[0:1], 0, v5
	v_cndmask_b32_e64 v5, 0, 1, s[0:1]
	v_lshl_or_b32 v5, v5, 9, v2
	v_cvt_f64_f32_e32 v[7:8], v7
	v_cmp_eq_u32_e64 s[0:1], s11, v9
	v_cndmask_b32_e64 v5, v11, v5, s[0:1]
	v_lshrrev_b32_e32 v6, 16, v6
	v_and_or_b32 v9, v6, s14, v5
	v_mul_f64 v[5:6], v[7:8], s[12:13]
	v_and_b32_e32 v0, 0xffff, v0
	v_add_co_u32_e64 v3, s[0:1], s6, v3
	v_lshl_or_b32 v0, v9, 16, v0
	v_addc_co_u32_e64 v4, s[0:1], v4, v1, s[0:1]
	global_store_dword v[3:4], v0, off
	v_and_or_b32 v0, v6, s15, v5
	v_cmp_ne_u32_e64 s[0:1], 0, v0
	v_cndmask_b32_e64 v0, 0, 1, s[0:1]
	v_lshrrev_b32_e32 v5, 8, v6
	v_bfe_u32 v7, v6, 20, 11
	v_and_or_b32 v0, v5, s10, v0
	v_sub_u32_e32 v8, 0x3f1, v7
	v_or_b32_e32 v5, 0x1000, v0
	v_med3_i32 v8, v8, 0, 13
	v_lshrrev_b32_e32 v9, v8, v5
	v_lshlrev_b32_e32 v8, v8, v9
	v_cmp_ne_u32_e64 s[0:1], v8, v5
	v_mul_f16_sdwa v8, v38, v10 dst_sel:DWORD dst_unused:UNUSED_PAD src0_sel:WORD_1 src1_sel:DWORD
	v_cndmask_b32_e64 v5, 0, 1, s[0:1]
	v_fma_f16 v8, v38, v14, -v8
	v_or_b32_e32 v5, v9, v5
	v_add_u32_e32 v9, 0xfffffc10, v7
	v_cvt_f32_f16_e32 v8, v8
	v_lshl_or_b32 v7, v9, 12, v0
	v_cmp_gt_i32_e64 s[0:1], 1, v9
	v_cndmask_b32_e64 v5, v7, v5, s[0:1]
	v_and_b32_e32 v7, 7, v5
	v_cmp_lt_i32_e64 s[0:1], 5, v7
	v_cmp_eq_u32_e64 s[2:3], 3, v7
	v_cvt_f64_f32_e32 v[7:8], v8
	v_lshrrev_b32_e32 v5, 2, v5
	s_or_b64 s[0:1], s[2:3], s[0:1]
	v_addc_co_u32_e64 v5, s[0:1], 0, v5, s[0:1]
	v_mul_f64 v[7:8], v[7:8], s[12:13]
	v_cmp_gt_i32_e64 s[0:1], 31, v9
	v_cndmask_b32_e64 v5, v2, v5, s[0:1]
	v_cmp_ne_u32_e64 s[0:1], 0, v0
	v_cndmask_b32_e64 v0, 0, 1, s[0:1]
	v_lshl_or_b32 v0, v0, 9, v2
	v_cmp_eq_u32_e64 s[0:1], s11, v9
	v_cndmask_b32_e64 v0, v5, v0, s[0:1]
	v_lshrrev_b32_e32 v5, 16, v6
	v_and_or_b32 v0, v5, s14, v0
	v_and_or_b32 v5, v8, s15, v7
	v_cmp_ne_u32_e64 s[0:1], 0, v5
	v_cndmask_b32_e64 v5, 0, 1, s[0:1]
	v_lshrrev_b32_e32 v6, 8, v8
	v_bfe_u32 v7, v8, 20, 11
	v_and_or_b32 v5, v6, s10, v5
	v_sub_u32_e32 v9, 0x3f1, v7
	v_or_b32_e32 v6, 0x1000, v5
	v_med3_i32 v9, v9, 0, 13
	v_lshrrev_b32_e32 v10, v9, v6
	v_lshlrev_b32_e32 v9, v9, v10
	v_cmp_ne_u32_e64 s[0:1], v9, v6
	v_cndmask_b32_e64 v6, 0, 1, s[0:1]
	v_add_u32_e32 v7, 0xfffffc10, v7
	v_or_b32_e32 v6, v10, v6
	v_lshl_or_b32 v9, v7, 12, v5
	v_cmp_gt_i32_e64 s[0:1], 1, v7
	v_cndmask_b32_e64 v6, v9, v6, s[0:1]
	v_and_b32_e32 v9, 7, v6
	v_cmp_lt_i32_e64 s[0:1], 5, v9
	v_cmp_eq_u32_e64 s[2:3], 3, v9
	v_lshrrev_b32_e32 v6, 2, v6
	s_or_b64 s[0:1], s[2:3], s[0:1]
	v_addc_co_u32_e64 v6, s[0:1], 0, v6, s[0:1]
	v_cmp_gt_i32_e64 s[0:1], 31, v7
	v_cndmask_b32_e64 v6, v2, v6, s[0:1]
	v_cmp_ne_u32_e64 s[0:1], 0, v5
	v_cndmask_b32_e64 v5, 0, 1, s[0:1]
	v_lshl_or_b32 v5, v5, 9, v2
	v_cmp_eq_u32_e64 s[0:1], s11, v7
	v_cndmask_b32_e64 v5, v6, v5, s[0:1]
	v_lshrrev_b32_e32 v6, 16, v8
	v_and_or_b32 v5, v6, s14, v5
	v_and_b32_e32 v0, 0xffff, v0
	v_lshl_or_b32 v5, v5, 16, v0
	v_add_co_u32_e64 v0, s[0:1], s6, v3
	v_addc_co_u32_e64 v1, s[0:1], v4, v1, s[0:1]
	global_store_dword v[0:1], v5, off
	s_and_b64 exec, exec, vcc
	s_cbranch_execz .LBB0_15
; %bb.14:
	global_load_dword v5, v[12:13], off offset:252
	global_load_dword v11, v[12:13], off offset:644
	ds_read2_b32 v[3:4], v37 offset0:63 offset1:161
	global_load_dword v14, v[12:13], off offset:1036
	v_mov_b32_e32 v9, 0xfffff4bc
	v_mad_u64_u32 v[9:10], s[0:1], s8, v9, v[0:1]
	s_waitcnt lgkmcnt(0)
	v_lshrrev_b32_e32 v6, 16, v3
	v_lshrrev_b32_e32 v17, 16, v4
	s_mul_i32 s2, s9, 0xfffff4bc
	s_sub_i32 s0, s2, s8
	v_add_u32_e32 v10, s0, v10
	s_waitcnt vmcnt(2)
	v_mul_f16_sdwa v7, v6, v5 dst_sel:DWORD dst_unused:UNUSED_PAD src0_sel:DWORD src1_sel:WORD_1
	v_mul_f16_sdwa v8, v3, v5 dst_sel:DWORD dst_unused:UNUSED_PAD src0_sel:DWORD src1_sel:WORD_1
	v_fma_f16 v3, v3, v5, v7
	v_cvt_f32_f16_e32 v3, v3
	s_waitcnt vmcnt(1)
	v_mul_f16_sdwa v7, v17, v11 dst_sel:DWORD dst_unused:UNUSED_PAD src0_sel:DWORD src1_sel:WORD_1
	v_fma_f16 v5, v5, v6, -v8
	v_cvt_f32_f16_e32 v8, v5
	v_cvt_f64_f32_e32 v[5:6], v3
	v_fma_f16 v3, v4, v11, v7
	v_cvt_f32_f16_e32 v3, v3
	v_cvt_f64_f32_e32 v[7:8], v8
	v_mul_f64 v[5:6], v[5:6], s[12:13]
	v_mul_f16_sdwa v4, v4, v11 dst_sel:DWORD dst_unused:UNUSED_PAD src0_sel:DWORD src1_sel:WORD_1
	v_cvt_f64_f32_e32 v[0:1], v3
	v_mul_f64 v[7:8], v[7:8], s[12:13]
	v_fma_f16 v4, v11, v17, -v4
	v_cvt_f32_f16_e32 v4, v4
	v_mul_f64 v[0:1], v[0:1], s[12:13]
	v_and_or_b32 v3, v6, s15, v5
	v_cmp_ne_u32_e32 vcc, 0, v3
	v_lshrrev_b32_e32 v5, 8, v6
	v_and_or_b32 v7, v8, s15, v7
	v_bfe_u32 v18, v6, 20, 11
	v_cndmask_b32_e64 v3, 0, 1, vcc
	v_and_or_b32 v0, v1, s15, v0
	v_cmp_ne_u32_e32 vcc, 0, v7
	v_lshrrev_b32_e32 v19, 8, v8
	v_bfe_u32 v20, v8, 20, 11
	v_bfe_u32 v23, v1, 20, 11
	v_sub_u32_e32 v24, 0x3f1, v18
	v_cndmask_b32_e64 v7, 0, 1, vcc
	v_cmp_ne_u32_e32 vcc, 0, v0
	v_and_or_b32 v3, v5, s10, v3
	v_lshrrev_b32_e32 v22, 8, v1
	v_sub_u32_e32 v25, 0x3f1, v20
	v_cndmask_b32_e64 v0, 0, 1, vcc
	v_sub_u32_e32 v26, 0x3f1, v23
	v_med3_i32 v5, v24, 0, 13
	v_and_or_b32 v7, v19, s10, v7
	v_or_b32_e32 v24, 0x1000, v3
	v_add_u32_e32 v18, 0xfffffc10, v18
	v_med3_i32 v19, v25, 0, 13
	v_and_or_b32 v0, v22, s10, v0
	v_med3_i32 v22, v26, 0, 13
	v_cmp_ne_u32_e32 vcc, 0, v3
	v_or_b32_e32 v26, 0x1000, v7
	v_lshrrev_b32_e32 v30, v5, v24
	v_add_u32_e32 v20, 0xfffffc10, v20
	v_lshl_or_b32 v25, v18, 12, v3
	v_cndmask_b32_e64 v3, 0, 1, vcc
	v_cmp_ne_u32_e32 vcc, 0, v7
	v_or_b32_e32 v28, 0x1000, v0
	v_lshrrev_b32_e32 v31, v19, v26
	v_lshlrev_b32_e32 v5, v5, v30
	v_lshl_or_b32 v27, v20, 12, v7
	v_cndmask_b32_e64 v7, 0, 1, vcc
	v_lshrrev_b32_e32 v32, v22, v28
	v_lshlrev_b32_e32 v19, v19, v31
	v_cmp_ne_u32_e32 vcc, v5, v24
	v_lshlrev_b32_e32 v22, v22, v32
	v_cndmask_b32_e64 v5, 0, 1, vcc
	v_cmp_ne_u32_e32 vcc, v19, v26
	v_cndmask_b32_e64 v19, 0, 1, vcc
	v_cmp_ne_u32_e32 vcc, v22, v28
	v_cndmask_b32_e64 v22, 0, 1, vcc
	v_or_b32_e32 v5, v30, v5
	v_cmp_gt_i32_e32 vcc, 1, v18
	v_add_u32_e32 v23, 0xfffffc10, v23
	v_or_b32_e32 v19, v31, v19
	v_cndmask_b32_e32 v5, v25, v5, vcc
	v_cmp_gt_i32_e32 vcc, 1, v20
	v_lshl_or_b32 v29, v23, 12, v0
	v_or_b32_e32 v22, v32, v22
	v_cndmask_b32_e32 v19, v27, v19, vcc
	v_cmp_gt_i32_e32 vcc, 1, v23
	v_and_b32_e32 v24, 7, v5
	v_cndmask_b32_e32 v22, v29, v22, vcc
	v_cmp_lt_i32_e32 vcc, 5, v24
	v_cmp_eq_u32_e64 s[0:1], 3, v24
	v_lshrrev_b32_e32 v5, 2, v5
	v_and_b32_e32 v25, 7, v19
	s_or_b64 vcc, s[0:1], vcc
	v_cmp_lt_i32_e64 s[2:3], 5, v25
	v_cmp_eq_u32_e64 s[4:5], 3, v25
	v_addc_co_u32_e32 v5, vcc, 0, v5, vcc
	v_lshrrev_b32_e32 v19, 2, v19
	s_or_b64 vcc, s[4:5], s[2:3]
	v_addc_co_u32_e32 v19, vcc, 0, v19, vcc
	v_cmp_gt_i32_e32 vcc, 31, v18
	v_cndmask_b32_e32 v5, v2, v5, vcc
	v_cmp_gt_i32_e32 vcc, 31, v20
	v_lshl_or_b32 v3, v3, 9, v2
	v_cndmask_b32_e32 v19, v2, v19, vcc
	v_cmp_eq_u32_e32 vcc, s11, v18
	v_lshrrev_b32_e32 v6, 16, v6
	v_lshl_or_b32 v7, v7, 9, v2
	v_cndmask_b32_e32 v3, v5, v3, vcc
	v_cmp_eq_u32_e32 vcc, s11, v20
	v_lshrrev_b32_e32 v8, 16, v8
	v_cndmask_b32_e32 v5, v19, v7, vcc
	v_and_or_b32 v3, v6, s14, v3
	v_and_or_b32 v5, v8, s14, v5
	v_and_b32_e32 v3, 0xffff, v3
	v_lshl_or_b32 v3, v5, 16, v3
	global_store_dword v[9:10], v3, off
	v_and_b32_e32 v3, 7, v22
	v_cmp_lt_i32_e32 vcc, 5, v3
	v_cmp_eq_u32_e64 s[0:1], 3, v3
	v_cvt_f64_f32_e32 v[3:4], v4
	v_lshrrev_b32_e32 v5, 2, v22
	s_or_b64 vcc, s[0:1], vcc
	v_addc_co_u32_e32 v5, vcc, 0, v5, vcc
	v_mul_f64 v[3:4], v[3:4], s[12:13]
	v_cmp_gt_i32_e32 vcc, 31, v23
	v_cndmask_b32_e32 v5, v2, v5, vcc
	v_cmp_ne_u32_e32 vcc, 0, v0
	v_cndmask_b32_e64 v0, 0, 1, vcc
	v_lshl_or_b32 v0, v0, 9, v2
	v_cmp_eq_u32_e32 vcc, s11, v23
	v_cndmask_b32_e32 v0, v5, v0, vcc
	v_lshrrev_b32_e32 v1, 16, v1
	v_and_or_b32 v7, v1, s14, v0
	v_and_or_b32 v0, v4, s15, v3
	v_cmp_ne_u32_e32 vcc, 0, v0
	v_cndmask_b32_e64 v0, 0, 1, vcc
	v_lshrrev_b32_e32 v1, 8, v4
	v_bfe_u32 v3, v4, 20, 11
	v_and_or_b32 v0, v1, s10, v0
	v_sub_u32_e32 v5, 0x3f1, v3
	v_or_b32_e32 v1, 0x1000, v0
	v_med3_i32 v5, v5, 0, 13
	v_lshrrev_b32_e32 v6, v5, v1
	v_lshlrev_b32_e32 v5, v5, v6
	v_cmp_ne_u32_e32 vcc, v5, v1
	v_cndmask_b32_e64 v1, 0, 1, vcc
	v_add_u32_e32 v3, 0xfffffc10, v3
	v_or_b32_e32 v1, v6, v1
	v_lshl_or_b32 v5, v3, 12, v0
	v_cmp_gt_i32_e32 vcc, 1, v3
	v_cndmask_b32_e32 v1, v5, v1, vcc
	v_and_b32_e32 v5, 7, v1
	v_cmp_lt_i32_e32 vcc, 5, v5
	v_cmp_eq_u32_e64 s[0:1], 3, v5
	ds_read2_b32 v[5:6], v21 offset0:3 offset1:101
	v_lshrrev_b32_e32 v1, 2, v1
	s_or_b64 vcc, s[0:1], vcc
	v_addc_co_u32_e32 v1, vcc, 0, v1, vcc
	s_waitcnt lgkmcnt(0)
	v_lshrrev_b32_e32 v11, 16, v5
	s_waitcnt vmcnt(1)
	v_mul_f16_sdwa v8, v11, v14 dst_sel:DWORD dst_unused:UNUSED_PAD src0_sel:DWORD src1_sel:WORD_1
	v_fma_f16 v8, v5, v14, v8
	v_cmp_gt_i32_e32 vcc, 31, v3
	v_cvt_f32_f16_e32 v8, v8
	v_cndmask_b32_e32 v1, v2, v1, vcc
	v_cmp_ne_u32_e32 vcc, 0, v0
	v_cndmask_b32_e64 v0, 0, 1, vcc
	v_lshl_or_b32 v0, v0, 9, v2
	v_cmp_eq_u32_e32 vcc, s11, v3
	v_cndmask_b32_e32 v3, v1, v0, vcc
	v_cvt_f64_f32_e32 v[0:1], v8
	v_lshrrev_b32_e32 v4, 16, v4
	v_and_or_b32 v8, v4, s14, v3
	v_and_b32_e32 v7, 0xffff, v7
	v_mul_f64 v[3:4], v[0:1], s[12:13]
	v_lshl_or_b32 v1, v8, 16, v7
	v_mov_b32_e32 v0, s7
	v_add_co_u32_e32 v7, vcc, s6, v9
	v_addc_co_u32_e32 v8, vcc, v10, v0, vcc
	global_store_dword v[7:8], v1, off
	v_and_or_b32 v1, v4, s15, v3
	v_cmp_ne_u32_e32 vcc, 0, v1
	v_cndmask_b32_e64 v1, 0, 1, vcc
	v_lshrrev_b32_e32 v3, 8, v4
	v_bfe_u32 v9, v4, 20, 11
	v_and_or_b32 v1, v3, s10, v1
	v_sub_u32_e32 v10, 0x3f1, v9
	v_or_b32_e32 v3, 0x1000, v1
	v_med3_i32 v10, v10, 0, 13
	v_lshrrev_b32_e32 v17, v10, v3
	v_lshlrev_b32_e32 v10, v10, v17
	v_cmp_ne_u32_e32 vcc, v10, v3
	v_mul_f16_sdwa v5, v5, v14 dst_sel:DWORD dst_unused:UNUSED_PAD src0_sel:DWORD src1_sel:WORD_1
	v_cndmask_b32_e64 v3, 0, 1, vcc
	v_fma_f16 v5, v14, v11, -v5
	v_or_b32_e32 v3, v17, v3
	v_add_u32_e32 v17, 0xfffffc10, v9
	v_cvt_f32_f16_e32 v5, v5
	v_lshl_or_b32 v9, v17, 12, v1
	v_cmp_gt_i32_e32 vcc, 1, v17
	v_cndmask_b32_e32 v3, v9, v3, vcc
	v_and_b32_e32 v9, 7, v3
	v_cmp_lt_i32_e32 vcc, 5, v9
	v_cmp_eq_u32_e64 s[0:1], 3, v9
	v_cvt_f64_f32_e32 v[9:10], v5
	v_lshrrev_b32_e32 v3, 2, v3
	s_or_b64 vcc, s[0:1], vcc
	v_addc_co_u32_e32 v3, vcc, 0, v3, vcc
	v_mul_f64 v[9:10], v[9:10], s[12:13]
	v_cmp_gt_i32_e32 vcc, 31, v17
	v_cndmask_b32_e32 v3, v2, v3, vcc
	v_cmp_ne_u32_e32 vcc, 0, v1
	v_cndmask_b32_e64 v1, 0, 1, vcc
	v_lshl_or_b32 v1, v1, 9, v2
	v_cmp_eq_u32_e32 vcc, s11, v17
	v_cndmask_b32_e32 v1, v3, v1, vcc
	v_lshrrev_b32_e32 v3, 16, v4
	v_and_or_b32 v1, v3, s14, v1
	v_and_or_b32 v3, v10, s15, v9
	v_cmp_ne_u32_e32 vcc, 0, v3
	v_cndmask_b32_e64 v3, 0, 1, vcc
	v_lshrrev_b32_e32 v4, 8, v10
	v_bfe_u32 v5, v10, 20, 11
	v_and_or_b32 v3, v4, s10, v3
	v_sub_u32_e32 v9, 0x3f1, v5
	v_or_b32_e32 v4, 0x1000, v3
	v_med3_i32 v9, v9, 0, 13
	v_lshrrev_b32_e32 v11, v9, v4
	v_lshlrev_b32_e32 v9, v9, v11
	v_cmp_ne_u32_e32 vcc, v9, v4
	v_cndmask_b32_e64 v4, 0, 1, vcc
	v_add_u32_e32 v5, 0xfffffc10, v5
	v_or_b32_e32 v4, v11, v4
	v_lshl_or_b32 v9, v5, 12, v3
	v_cmp_gt_i32_e32 vcc, 1, v5
	v_cndmask_b32_e32 v4, v9, v4, vcc
	v_and_b32_e32 v9, 7, v4
	v_cmp_lt_i32_e32 vcc, 5, v9
	v_cmp_eq_u32_e64 s[0:1], 3, v9
	v_lshrrev_b32_e32 v4, 2, v4
	s_or_b64 vcc, s[0:1], vcc
	v_addc_co_u32_e32 v4, vcc, 0, v4, vcc
	v_cmp_gt_i32_e32 vcc, 31, v5
	v_cndmask_b32_e32 v4, v2, v4, vcc
	v_cmp_ne_u32_e32 vcc, 0, v3
	v_cndmask_b32_e64 v3, 0, 1, vcc
	v_lshl_or_b32 v3, v3, 9, v2
	v_cmp_eq_u32_e32 vcc, s11, v5
	v_cndmask_b32_e32 v3, v4, v3, vcc
	v_lshrrev_b32_e32 v4, 16, v10
	v_and_or_b32 v3, v4, s14, v3
	v_and_b32_e32 v1, 0xffff, v1
	v_lshl_or_b32 v1, v3, 16, v1
	v_add_co_u32_e32 v3, vcc, s6, v7
	v_addc_co_u32_e32 v4, vcc, v8, v0, vcc
	global_store_dword v[3:4], v1, off
	global_load_dword v1, v[12:13], off offset:1428
	v_lshrrev_b32_e32 v5, 16, v6
	s_waitcnt vmcnt(0)
	v_mul_f16_sdwa v7, v5, v1 dst_sel:DWORD dst_unused:UNUSED_PAD src0_sel:DWORD src1_sel:WORD_1
	v_fma_f16 v7, v6, v1, v7
	v_cvt_f32_f16_e32 v7, v7
	v_mul_f16_sdwa v6, v6, v1 dst_sel:DWORD dst_unused:UNUSED_PAD src0_sel:DWORD src1_sel:WORD_1
	v_fma_f16 v1, v1, v5, -v6
	v_cvt_f32_f16_e32 v1, v1
	v_cvt_f64_f32_e32 v[7:8], v7
	v_cvt_f64_f32_e32 v[5:6], v1
	v_mul_f64 v[7:8], v[7:8], s[12:13]
	v_mul_f64 v[5:6], v[5:6], s[12:13]
	v_and_or_b32 v7, v8, s15, v7
	v_cmp_ne_u32_e32 vcc, 0, v7
	v_cndmask_b32_e64 v7, 0, 1, vcc
	v_lshrrev_b32_e32 v9, 8, v8
	v_bfe_u32 v10, v8, 20, 11
	v_and_or_b32 v7, v9, s10, v7
	v_sub_u32_e32 v11, 0x3f1, v10
	v_or_b32_e32 v9, 0x1000, v7
	v_med3_i32 v11, v11, 0, 13
	v_lshrrev_b32_e32 v14, v11, v9
	v_lshlrev_b32_e32 v11, v11, v14
	v_cmp_ne_u32_e32 vcc, v11, v9
	v_cndmask_b32_e64 v9, 0, 1, vcc
	v_add_u32_e32 v10, 0xfffffc10, v10
	v_or_b32_e32 v9, v14, v9
	v_lshl_or_b32 v11, v10, 12, v7
	v_cmp_gt_i32_e32 vcc, 1, v10
	v_cndmask_b32_e32 v9, v11, v9, vcc
	v_and_b32_e32 v11, 7, v9
	v_cmp_lt_i32_e32 vcc, 5, v11
	v_cmp_eq_u32_e64 s[0:1], 3, v11
	v_lshrrev_b32_e32 v9, 2, v9
	s_or_b64 vcc, s[0:1], vcc
	v_addc_co_u32_e32 v1, vcc, 0, v9, vcc
	v_cmp_gt_i32_e32 vcc, 31, v10
	v_cndmask_b32_e32 v1, v2, v1, vcc
	v_cmp_ne_u32_e32 vcc, 0, v7
	v_cndmask_b32_e64 v7, 0, 1, vcc
	v_lshl_or_b32 v7, v7, 9, v2
	v_cmp_eq_u32_e32 vcc, s11, v10
	v_and_or_b32 v5, v6, s15, v5
	v_cndmask_b32_e32 v1, v1, v7, vcc
	v_lshrrev_b32_e32 v7, 16, v8
	v_cmp_ne_u32_e32 vcc, 0, v5
	v_and_or_b32 v1, v7, s14, v1
	v_cndmask_b32_e64 v5, 0, 1, vcc
	v_lshrrev_b32_e32 v7, 8, v6
	v_bfe_u32 v8, v6, 20, 11
	v_and_or_b32 v5, v7, s10, v5
	v_sub_u32_e32 v9, 0x3f1, v8
	v_or_b32_e32 v7, 0x1000, v5
	v_med3_i32 v9, v9, 0, 13
	v_lshrrev_b32_e32 v10, v9, v7
	v_lshlrev_b32_e32 v9, v9, v10
	v_cmp_ne_u32_e32 vcc, v9, v7
	v_cndmask_b32_e64 v7, 0, 1, vcc
	v_add_u32_e32 v8, 0xfffffc10, v8
	v_or_b32_e32 v7, v10, v7
	v_lshl_or_b32 v9, v8, 12, v5
	v_cmp_gt_i32_e32 vcc, 1, v8
	v_cndmask_b32_e32 v7, v9, v7, vcc
	v_and_b32_e32 v9, 7, v7
	v_cmp_lt_i32_e32 vcc, 5, v9
	v_cmp_eq_u32_e64 s[0:1], 3, v9
	v_lshrrev_b32_e32 v7, 2, v7
	s_or_b64 vcc, s[0:1], vcc
	v_addc_co_u32_e32 v7, vcc, 0, v7, vcc
	v_cmp_gt_i32_e32 vcc, 31, v8
	v_cndmask_b32_e32 v7, v2, v7, vcc
	v_cmp_ne_u32_e32 vcc, 0, v5
	v_cndmask_b32_e64 v5, 0, 1, vcc
	v_lshl_or_b32 v5, v5, 9, v2
	v_cmp_eq_u32_e32 vcc, s11, v8
	v_cndmask_b32_e32 v5, v7, v5, vcc
	v_lshrrev_b32_e32 v6, 16, v6
	v_and_or_b32 v5, v6, s14, v5
	v_and_b32_e32 v1, 0xffff, v1
	v_add_co_u32_e32 v3, vcc, s6, v3
	v_lshl_or_b32 v1, v5, 16, v1
	v_addc_co_u32_e32 v4, vcc, v4, v0, vcc
	global_store_dword v[3:4], v1, off
	global_load_dword v1, v[12:13], off offset:1820
	ds_read2_b32 v[5:6], v16 offset0:71 offset1:169
	s_waitcnt lgkmcnt(0)
	v_lshrrev_b32_e32 v9, 16, v5
	s_waitcnt vmcnt(0)
	v_mul_f16_sdwa v7, v9, v1 dst_sel:DWORD dst_unused:UNUSED_PAD src0_sel:DWORD src1_sel:WORD_1
	v_fma_f16 v7, v5, v1, v7
	v_cvt_f32_f16_e32 v7, v7
	v_mul_f16_sdwa v5, v5, v1 dst_sel:DWORD dst_unused:UNUSED_PAD src0_sel:DWORD src1_sel:WORD_1
	v_fma_f16 v1, v1, v9, -v5
	v_cvt_f32_f16_e32 v1, v1
	v_cvt_f64_f32_e32 v[7:8], v7
	v_mul_f64 v[7:8], v[7:8], s[12:13]
	v_and_or_b32 v7, v8, s15, v7
	v_cmp_ne_u32_e32 vcc, 0, v7
	v_cndmask_b32_e64 v7, 0, 1, vcc
	v_lshrrev_b32_e32 v10, 8, v8
	v_bfe_u32 v11, v8, 20, 11
	v_and_or_b32 v7, v10, s10, v7
	v_sub_u32_e32 v14, 0x3f1, v11
	v_or_b32_e32 v10, 0x1000, v7
	v_med3_i32 v14, v14, 0, 13
	v_lshrrev_b32_e32 v16, v14, v10
	v_lshlrev_b32_e32 v14, v14, v16
	v_cmp_ne_u32_e32 vcc, v14, v10
	v_cndmask_b32_e64 v10, 0, 1, vcc
	v_add_u32_e32 v11, 0xfffffc10, v11
	v_or_b32_e32 v10, v16, v10
	v_lshl_or_b32 v14, v11, 12, v7
	v_cmp_gt_i32_e32 vcc, 1, v11
	v_cndmask_b32_e32 v10, v14, v10, vcc
	v_and_b32_e32 v14, 7, v10
	v_lshrrev_b32_e32 v5, 2, v10
	v_cvt_f64_f32_e32 v[9:10], v1
	v_cmp_lt_i32_e32 vcc, 5, v14
	v_cmp_eq_u32_e64 s[0:1], 3, v14
	s_or_b64 vcc, s[0:1], vcc
	v_mul_f64 v[9:10], v[9:10], s[12:13]
	v_addc_co_u32_e32 v1, vcc, 0, v5, vcc
	v_cmp_gt_i32_e32 vcc, 31, v11
	v_cndmask_b32_e32 v1, v2, v1, vcc
	v_cmp_ne_u32_e32 vcc, 0, v7
	v_cndmask_b32_e64 v5, 0, 1, vcc
	v_lshl_or_b32 v5, v5, 9, v2
	v_cmp_eq_u32_e32 vcc, s11, v11
	v_cndmask_b32_e32 v1, v1, v5, vcc
	v_lshrrev_b32_e32 v5, 16, v8
	v_and_or_b32 v1, v5, s14, v1
	v_and_or_b32 v5, v10, s15, v9
	v_cmp_ne_u32_e32 vcc, 0, v5
	v_cndmask_b32_e64 v5, 0, 1, vcc
	v_lshrrev_b32_e32 v7, 8, v10
	v_bfe_u32 v8, v10, 20, 11
	v_and_or_b32 v5, v7, s10, v5
	v_sub_u32_e32 v9, 0x3f1, v8
	v_or_b32_e32 v7, 0x1000, v5
	v_med3_i32 v9, v9, 0, 13
	v_lshrrev_b32_e32 v11, v9, v7
	v_lshlrev_b32_e32 v9, v9, v11
	v_cmp_ne_u32_e32 vcc, v9, v7
	v_cndmask_b32_e64 v7, 0, 1, vcc
	v_add_u32_e32 v8, 0xfffffc10, v8
	v_or_b32_e32 v7, v11, v7
	v_lshl_or_b32 v9, v8, 12, v5
	v_cmp_gt_i32_e32 vcc, 1, v8
	v_cndmask_b32_e32 v7, v9, v7, vcc
	v_and_b32_e32 v9, 7, v7
	v_cmp_lt_i32_e32 vcc, 5, v9
	v_cmp_eq_u32_e64 s[0:1], 3, v9
	v_lshrrev_b32_e32 v7, 2, v7
	s_or_b64 vcc, s[0:1], vcc
	v_addc_co_u32_e32 v7, vcc, 0, v7, vcc
	v_cmp_gt_i32_e32 vcc, 31, v8
	v_cndmask_b32_e32 v7, v2, v7, vcc
	v_cmp_ne_u32_e32 vcc, 0, v5
	v_cndmask_b32_e64 v5, 0, 1, vcc
	v_lshl_or_b32 v5, v5, 9, v2
	v_cmp_eq_u32_e32 vcc, s11, v8
	v_cndmask_b32_e32 v5, v7, v5, vcc
	v_lshrrev_b32_e32 v7, 16, v10
	v_and_or_b32 v5, v7, s14, v5
	v_and_b32_e32 v1, 0xffff, v1
	v_add_co_u32_e32 v3, vcc, s6, v3
	v_lshl_or_b32 v1, v5, 16, v1
	v_addc_co_u32_e32 v4, vcc, v4, v0, vcc
	global_store_dword v[3:4], v1, off
	global_load_dword v1, v[12:13], off offset:2212
	v_lshrrev_b32_e32 v5, 16, v6
	s_waitcnt vmcnt(0)
	v_mul_f16_sdwa v7, v5, v1 dst_sel:DWORD dst_unused:UNUSED_PAD src0_sel:DWORD src1_sel:WORD_1
	v_fma_f16 v7, v6, v1, v7
	v_cvt_f32_f16_e32 v7, v7
	v_mul_f16_sdwa v6, v6, v1 dst_sel:DWORD dst_unused:UNUSED_PAD src0_sel:DWORD src1_sel:WORD_1
	v_fma_f16 v1, v1, v5, -v6
	v_cvt_f32_f16_e32 v1, v1
	v_cvt_f64_f32_e32 v[7:8], v7
	v_cvt_f64_f32_e32 v[5:6], v1
	v_mul_f64 v[7:8], v[7:8], s[12:13]
	v_mul_f64 v[5:6], v[5:6], s[12:13]
	v_and_or_b32 v7, v8, s15, v7
	v_cmp_ne_u32_e32 vcc, 0, v7
	v_cndmask_b32_e64 v7, 0, 1, vcc
	v_lshrrev_b32_e32 v9, 8, v8
	v_bfe_u32 v10, v8, 20, 11
	v_and_or_b32 v7, v9, s10, v7
	v_sub_u32_e32 v11, 0x3f1, v10
	v_or_b32_e32 v9, 0x1000, v7
	v_med3_i32 v11, v11, 0, 13
	v_lshrrev_b32_e32 v14, v11, v9
	v_lshlrev_b32_e32 v11, v11, v14
	v_cmp_ne_u32_e32 vcc, v11, v9
	v_cndmask_b32_e64 v9, 0, 1, vcc
	v_add_u32_e32 v10, 0xfffffc10, v10
	v_or_b32_e32 v9, v14, v9
	v_lshl_or_b32 v11, v10, 12, v7
	v_cmp_gt_i32_e32 vcc, 1, v10
	v_cndmask_b32_e32 v9, v11, v9, vcc
	v_and_b32_e32 v11, 7, v9
	v_cmp_lt_i32_e32 vcc, 5, v11
	v_cmp_eq_u32_e64 s[0:1], 3, v11
	v_lshrrev_b32_e32 v9, 2, v9
	s_or_b64 vcc, s[0:1], vcc
	v_addc_co_u32_e32 v1, vcc, 0, v9, vcc
	v_cmp_gt_i32_e32 vcc, 31, v10
	v_cndmask_b32_e32 v1, v2, v1, vcc
	v_cmp_ne_u32_e32 vcc, 0, v7
	v_cndmask_b32_e64 v7, 0, 1, vcc
	v_lshl_or_b32 v7, v7, 9, v2
	v_cmp_eq_u32_e32 vcc, s11, v10
	v_and_or_b32 v5, v6, s15, v5
	v_cndmask_b32_e32 v1, v1, v7, vcc
	v_lshrrev_b32_e32 v7, 16, v8
	v_cmp_ne_u32_e32 vcc, 0, v5
	v_and_or_b32 v1, v7, s14, v1
	v_cndmask_b32_e64 v5, 0, 1, vcc
	v_lshrrev_b32_e32 v7, 8, v6
	v_bfe_u32 v8, v6, 20, 11
	v_and_or_b32 v5, v7, s10, v5
	v_sub_u32_e32 v9, 0x3f1, v8
	v_or_b32_e32 v7, 0x1000, v5
	v_med3_i32 v9, v9, 0, 13
	v_lshrrev_b32_e32 v10, v9, v7
	v_lshlrev_b32_e32 v9, v9, v10
	v_cmp_ne_u32_e32 vcc, v9, v7
	v_cndmask_b32_e64 v7, 0, 1, vcc
	v_add_u32_e32 v8, 0xfffffc10, v8
	v_or_b32_e32 v7, v10, v7
	v_lshl_or_b32 v9, v8, 12, v5
	v_cmp_gt_i32_e32 vcc, 1, v8
	v_cndmask_b32_e32 v7, v9, v7, vcc
	v_and_b32_e32 v9, 7, v7
	v_cmp_lt_i32_e32 vcc, 5, v9
	v_cmp_eq_u32_e64 s[0:1], 3, v9
	v_lshrrev_b32_e32 v7, 2, v7
	s_or_b64 vcc, s[0:1], vcc
	v_addc_co_u32_e32 v7, vcc, 0, v7, vcc
	v_cmp_gt_i32_e32 vcc, 31, v8
	v_cndmask_b32_e32 v7, v2, v7, vcc
	v_cmp_ne_u32_e32 vcc, 0, v5
	v_cndmask_b32_e64 v5, 0, 1, vcc
	v_lshl_or_b32 v5, v5, 9, v2
	v_cmp_eq_u32_e32 vcc, s11, v8
	v_cndmask_b32_e32 v5, v7, v5, vcc
	v_lshrrev_b32_e32 v6, 16, v6
	v_and_or_b32 v5, v6, s14, v5
	v_and_b32_e32 v1, 0xffff, v1
	v_add_co_u32_e32 v3, vcc, s6, v3
	v_lshl_or_b32 v1, v5, 16, v1
	v_addc_co_u32_e32 v4, vcc, v4, v0, vcc
	global_store_dword v[3:4], v1, off
	global_load_dword v1, v[12:13], off offset:2604
	ds_read2_b32 v[5:6], v15 offset0:139 offset1:237
	s_waitcnt lgkmcnt(0)
	v_lshrrev_b32_e32 v7, 16, v5
	s_waitcnt vmcnt(0)
	v_mul_f16_sdwa v8, v7, v1 dst_sel:DWORD dst_unused:UNUSED_PAD src0_sel:DWORD src1_sel:WORD_1
	v_fma_f16 v8, v5, v1, v8
	v_cvt_f32_f16_e32 v8, v8
	v_mul_f16_sdwa v5, v5, v1 dst_sel:DWORD dst_unused:UNUSED_PAD src0_sel:DWORD src1_sel:WORD_1
	v_fma_f16 v1, v1, v7, -v5
	v_cvt_f32_f16_e32 v1, v1
	v_cvt_f64_f32_e32 v[7:8], v8
	v_cvt_f64_f32_e32 v[9:10], v1
	v_mul_f64 v[7:8], v[7:8], s[12:13]
	v_mul_f64 v[9:10], v[9:10], s[12:13]
	v_and_or_b32 v1, v8, s15, v7
	v_cmp_ne_u32_e32 vcc, 0, v1
	v_lshrrev_b32_e32 v5, 8, v8
	v_bfe_u32 v7, v8, 20, 11
	v_cndmask_b32_e64 v1, 0, 1, vcc
	v_sub_u32_e32 v11, 0x3f1, v7
	v_and_or_b32 v1, v5, s10, v1
	v_med3_i32 v5, v11, 0, 13
	v_or_b32_e32 v11, 0x1000, v1
	v_lshrrev_b32_e32 v15, v5, v11
	v_add_u32_e32 v7, 0xfffffc10, v7
	v_cmp_ne_u32_e32 vcc, 0, v1
	v_lshlrev_b32_e32 v5, v5, v15
	v_lshl_or_b32 v14, v7, 12, v1
	v_cndmask_b32_e64 v1, 0, 1, vcc
	v_cmp_ne_u32_e32 vcc, v5, v11
	v_cndmask_b32_e64 v5, 0, 1, vcc
	v_or_b32_e32 v5, v15, v5
	v_cmp_gt_i32_e32 vcc, 1, v7
	v_cndmask_b32_e32 v5, v14, v5, vcc
	v_and_b32_e32 v11, 7, v5
	v_cmp_lt_i32_e32 vcc, 5, v11
	v_cmp_eq_u32_e64 s[0:1], 3, v11
	v_lshrrev_b32_e32 v5, 2, v5
	s_or_b64 vcc, s[0:1], vcc
	v_addc_co_u32_e32 v5, vcc, 0, v5, vcc
	v_cmp_gt_i32_e32 vcc, 31, v7
	v_and_or_b32 v9, v10, s15, v9
	v_lshl_or_b32 v1, v1, 9, v2
	v_cndmask_b32_e32 v5, v2, v5, vcc
	v_cmp_eq_u32_e32 vcc, s11, v7
	v_lshrrev_b32_e32 v8, 16, v8
	v_cndmask_b32_e32 v1, v5, v1, vcc
	v_cmp_ne_u32_e32 vcc, 0, v9
	v_and_or_b32 v1, v8, s14, v1
	v_cndmask_b32_e64 v5, 0, 1, vcc
	v_lshrrev_b32_e32 v7, 8, v10
	v_bfe_u32 v8, v10, 20, 11
	v_and_or_b32 v5, v7, s10, v5
	v_sub_u32_e32 v9, 0x3f1, v8
	v_or_b32_e32 v7, 0x1000, v5
	v_med3_i32 v9, v9, 0, 13
	v_lshrrev_b32_e32 v11, v9, v7
	v_lshlrev_b32_e32 v9, v9, v11
	v_cmp_ne_u32_e32 vcc, v9, v7
	v_cndmask_b32_e64 v7, 0, 1, vcc
	v_add_u32_e32 v8, 0xfffffc10, v8
	v_or_b32_e32 v7, v11, v7
	v_lshl_or_b32 v9, v8, 12, v5
	v_cmp_gt_i32_e32 vcc, 1, v8
	v_cndmask_b32_e32 v7, v9, v7, vcc
	v_and_b32_e32 v9, 7, v7
	v_cmp_lt_i32_e32 vcc, 5, v9
	v_cmp_eq_u32_e64 s[0:1], 3, v9
	v_lshrrev_b32_e32 v7, 2, v7
	s_or_b64 vcc, s[0:1], vcc
	v_addc_co_u32_e32 v7, vcc, 0, v7, vcc
	v_cmp_gt_i32_e32 vcc, 31, v8
	v_cndmask_b32_e32 v7, v2, v7, vcc
	v_cmp_ne_u32_e32 vcc, 0, v5
	v_cndmask_b32_e64 v5, 0, 1, vcc
	v_lshl_or_b32 v5, v5, 9, v2
	v_cmp_eq_u32_e32 vcc, s11, v8
	v_cndmask_b32_e32 v5, v7, v5, vcc
	v_lshrrev_b32_e32 v7, 16, v10
	v_and_or_b32 v5, v7, s14, v5
	v_and_b32_e32 v1, 0xffff, v1
	v_add_co_u32_e32 v3, vcc, s6, v3
	v_lshl_or_b32 v1, v5, 16, v1
	v_addc_co_u32_e32 v4, vcc, v4, v0, vcc
	global_store_dword v[3:4], v1, off
	global_load_dword v1, v[12:13], off offset:2996
	v_lshrrev_b32_e32 v5, 16, v6
	s_waitcnt vmcnt(0)
	v_mul_f16_sdwa v7, v5, v1 dst_sel:DWORD dst_unused:UNUSED_PAD src0_sel:DWORD src1_sel:WORD_1
	v_fma_f16 v7, v6, v1, v7
	v_mul_f16_sdwa v6, v6, v1 dst_sel:DWORD dst_unused:UNUSED_PAD src0_sel:DWORD src1_sel:WORD_1
	v_cvt_f32_f16_e32 v7, v7
	v_fma_f16 v1, v1, v5, -v6
	v_cvt_f32_f16_e32 v1, v1
	v_cvt_f64_f32_e32 v[5:6], v7
	v_cvt_f64_f32_e32 v[7:8], v1
	v_mul_f64 v[5:6], v[5:6], s[12:13]
	v_mul_f64 v[7:8], v[7:8], s[12:13]
	v_and_or_b32 v1, v6, s15, v5
	v_cmp_ne_u32_e32 vcc, 0, v1
	v_and_or_b32 v7, v8, s15, v7
	v_lshrrev_b32_e32 v5, 8, v6
	v_bfe_u32 v9, v6, 20, 11
	v_cndmask_b32_e64 v1, 0, 1, vcc
	v_cmp_ne_u32_e32 vcc, 0, v7
	v_lshrrev_b32_e32 v10, 8, v8
	v_bfe_u32 v11, v8, 20, 11
	v_sub_u32_e32 v14, 0x3f1, v9
	v_cndmask_b32_e64 v7, 0, 1, vcc
	v_and_or_b32 v1, v5, s10, v1
	v_sub_u32_e32 v15, 0x3f1, v11
	v_med3_i32 v5, v14, 0, 13
	v_and_or_b32 v7, v10, s10, v7
	v_or_b32_e32 v14, 0x1000, v1
	v_add_u32_e32 v9, 0xfffffc10, v9
	v_med3_i32 v10, v15, 0, 13
	v_cmp_ne_u32_e32 vcc, 0, v1
	v_or_b32_e32 v16, 0x1000, v7
	v_lshrrev_b32_e32 v18, v5, v14
	v_add_u32_e32 v11, 0xfffffc10, v11
	v_lshl_or_b32 v15, v9, 12, v1
	v_cndmask_b32_e64 v1, 0, 1, vcc
	v_cmp_ne_u32_e32 vcc, 0, v7
	v_lshrrev_b32_e32 v19, v10, v16
	v_lshlrev_b32_e32 v5, v5, v18
	v_lshl_or_b32 v17, v11, 12, v7
	v_cndmask_b32_e64 v7, 0, 1, vcc
	v_lshlrev_b32_e32 v10, v10, v19
	v_cmp_ne_u32_e32 vcc, v5, v14
	v_cndmask_b32_e64 v5, 0, 1, vcc
	v_cmp_ne_u32_e32 vcc, v10, v16
	v_cndmask_b32_e64 v10, 0, 1, vcc
	v_or_b32_e32 v5, v18, v5
	v_cmp_gt_i32_e32 vcc, 1, v9
	v_cndmask_b32_e32 v5, v15, v5, vcc
	v_or_b32_e32 v10, v19, v10
	v_cmp_gt_i32_e32 vcc, 1, v11
	v_and_b32_e32 v14, 7, v5
	v_cndmask_b32_e32 v10, v17, v10, vcc
	v_cmp_lt_i32_e32 vcc, 5, v14
	v_cmp_eq_u32_e64 s[0:1], 3, v14
	v_lshrrev_b32_e32 v5, 2, v5
	v_and_b32_e32 v15, 7, v10
	s_or_b64 vcc, s[0:1], vcc
	v_cmp_lt_i32_e64 s[2:3], 5, v15
	v_cmp_eq_u32_e64 s[4:5], 3, v15
	v_addc_co_u32_e32 v5, vcc, 0, v5, vcc
	v_lshrrev_b32_e32 v10, 2, v10
	s_or_b64 vcc, s[4:5], s[2:3]
	v_addc_co_u32_e32 v10, vcc, 0, v10, vcc
	v_cmp_gt_i32_e32 vcc, 31, v9
	v_cndmask_b32_e32 v5, v2, v5, vcc
	v_cmp_gt_i32_e32 vcc, 31, v11
	v_lshl_or_b32 v1, v1, 9, v2
	v_cndmask_b32_e32 v10, v2, v10, vcc
	v_cmp_eq_u32_e32 vcc, s11, v9
	v_lshrrev_b32_e32 v6, 16, v6
	v_lshl_or_b32 v7, v7, 9, v2
	v_cndmask_b32_e32 v1, v5, v1, vcc
	v_cmp_eq_u32_e32 vcc, s11, v11
	v_and_or_b32 v1, v6, s14, v1
	v_cndmask_b32_e32 v5, v10, v7, vcc
	v_lshrrev_b32_e32 v6, 16, v8
	v_and_or_b32 v5, v6, s14, v5
	v_and_b32_e32 v1, 0xffff, v1
	v_add_co_u32_e32 v3, vcc, s6, v3
	v_lshl_or_b32 v1, v5, 16, v1
	v_addc_co_u32_e32 v4, vcc, v4, v0, vcc
	global_store_dword v[3:4], v1, off
	global_load_dword v1, v[12:13], off offset:3388
	ds_read_b32 v5, v37 offset:3388
	s_waitcnt lgkmcnt(0)
	v_lshrrev_b32_e32 v6, 16, v5
	s_waitcnt vmcnt(0)
	v_mul_f16_sdwa v7, v6, v1 dst_sel:DWORD dst_unused:UNUSED_PAD src0_sel:DWORD src1_sel:WORD_1
	v_fma_f16 v7, v5, v1, v7
	v_mul_f16_sdwa v5, v5, v1 dst_sel:DWORD dst_unused:UNUSED_PAD src0_sel:DWORD src1_sel:WORD_1
	v_cvt_f32_f16_e32 v7, v7
	v_fma_f16 v1, v1, v6, -v5
	v_cvt_f32_f16_e32 v1, v1
	v_cvt_f64_f32_e32 v[5:6], v7
	v_cvt_f64_f32_e32 v[7:8], v1
	v_mul_f64 v[5:6], v[5:6], s[12:13]
	v_mul_f64 v[7:8], v[7:8], s[12:13]
	v_and_or_b32 v1, v6, s15, v5
	v_cmp_ne_u32_e32 vcc, 0, v1
	v_and_or_b32 v7, v8, s15, v7
	v_lshrrev_b32_e32 v5, 8, v6
	v_bfe_u32 v9, v6, 20, 11
	v_cndmask_b32_e64 v1, 0, 1, vcc
	v_cmp_ne_u32_e32 vcc, 0, v7
	v_lshrrev_b32_e32 v10, 8, v8
	v_bfe_u32 v11, v8, 20, 11
	v_sub_u32_e32 v12, 0x3f1, v9
	v_cndmask_b32_e64 v7, 0, 1, vcc
	v_and_or_b32 v1, v5, s10, v1
	v_sub_u32_e32 v13, 0x3f1, v11
	v_med3_i32 v5, v12, 0, 13
	v_and_or_b32 v7, v10, s10, v7
	v_or_b32_e32 v12, 0x1000, v1
	v_add_u32_e32 v9, 0xfffffc10, v9
	v_med3_i32 v10, v13, 0, 13
	v_cmp_ne_u32_e32 vcc, 0, v1
	v_or_b32_e32 v14, 0x1000, v7
	v_lshrrev_b32_e32 v16, v5, v12
	v_add_u32_e32 v11, 0xfffffc10, v11
	v_lshl_or_b32 v13, v9, 12, v1
	v_cndmask_b32_e64 v1, 0, 1, vcc
	v_cmp_ne_u32_e32 vcc, 0, v7
	v_lshrrev_b32_e32 v17, v10, v14
	v_lshlrev_b32_e32 v5, v5, v16
	v_lshl_or_b32 v15, v11, 12, v7
	v_cndmask_b32_e64 v7, 0, 1, vcc
	v_lshlrev_b32_e32 v10, v10, v17
	v_cmp_ne_u32_e32 vcc, v5, v12
	v_cndmask_b32_e64 v5, 0, 1, vcc
	v_cmp_ne_u32_e32 vcc, v10, v14
	v_cndmask_b32_e64 v10, 0, 1, vcc
	v_or_b32_e32 v5, v16, v5
	v_cmp_gt_i32_e32 vcc, 1, v9
	v_cndmask_b32_e32 v5, v13, v5, vcc
	v_or_b32_e32 v10, v17, v10
	v_cmp_gt_i32_e32 vcc, 1, v11
	v_and_b32_e32 v12, 7, v5
	v_cndmask_b32_e32 v10, v15, v10, vcc
	v_cmp_lt_i32_e32 vcc, 5, v12
	v_cmp_eq_u32_e64 s[0:1], 3, v12
	v_lshrrev_b32_e32 v5, 2, v5
	v_and_b32_e32 v13, 7, v10
	s_or_b64 vcc, s[0:1], vcc
	v_cmp_lt_i32_e64 s[2:3], 5, v13
	v_cmp_eq_u32_e64 s[4:5], 3, v13
	v_addc_co_u32_e32 v5, vcc, 0, v5, vcc
	v_lshrrev_b32_e32 v10, 2, v10
	s_or_b64 vcc, s[4:5], s[2:3]
	v_addc_co_u32_e32 v10, vcc, 0, v10, vcc
	v_cmp_gt_i32_e32 vcc, 31, v9
	v_cndmask_b32_e32 v5, v2, v5, vcc
	v_cmp_gt_i32_e32 vcc, 31, v11
	v_lshl_or_b32 v1, v1, 9, v2
	v_lshl_or_b32 v7, v7, 9, v2
	v_cndmask_b32_e32 v2, v2, v10, vcc
	v_cmp_eq_u32_e32 vcc, s11, v9
	v_lshrrev_b32_e32 v6, 16, v6
	v_cndmask_b32_e32 v1, v5, v1, vcc
	v_cmp_eq_u32_e32 vcc, s11, v11
	v_lshrrev_b32_e32 v8, 16, v8
	v_cndmask_b32_e32 v2, v2, v7, vcc
	v_and_or_b32 v1, v6, s14, v1
	v_and_or_b32 v2, v8, s14, v2
	v_and_b32_e32 v1, 0xffff, v1
	v_lshl_or_b32 v5, v2, 16, v1
	v_add_co_u32_e32 v1, vcc, s6, v3
	v_addc_co_u32_e32 v2, vcc, v4, v0, vcc
	global_store_dword v[1:2], v5, off
.LBB0_15:
	s_endpgm
	.section	.rodata,"a",@progbits
	.p2align	6, 0x0
	.amdhsa_kernel bluestein_single_back_len882_dim1_half_op_CI_CI
		.amdhsa_group_segment_fixed_size 3528
		.amdhsa_private_segment_fixed_size 0
		.amdhsa_kernarg_size 104
		.amdhsa_user_sgpr_count 6
		.amdhsa_user_sgpr_private_segment_buffer 1
		.amdhsa_user_sgpr_dispatch_ptr 0
		.amdhsa_user_sgpr_queue_ptr 0
		.amdhsa_user_sgpr_kernarg_segment_ptr 1
		.amdhsa_user_sgpr_dispatch_id 0
		.amdhsa_user_sgpr_flat_scratch_init 0
		.amdhsa_user_sgpr_private_segment_size 0
		.amdhsa_uses_dynamic_stack 0
		.amdhsa_system_sgpr_private_segment_wavefront_offset 0
		.amdhsa_system_sgpr_workgroup_id_x 1
		.amdhsa_system_sgpr_workgroup_id_y 0
		.amdhsa_system_sgpr_workgroup_id_z 0
		.amdhsa_system_sgpr_workgroup_info 0
		.amdhsa_system_vgpr_workitem_id 0
		.amdhsa_next_free_vgpr 94
		.amdhsa_next_free_sgpr 18
		.amdhsa_reserve_vcc 1
		.amdhsa_reserve_flat_scratch 0
		.amdhsa_float_round_mode_32 0
		.amdhsa_float_round_mode_16_64 0
		.amdhsa_float_denorm_mode_32 3
		.amdhsa_float_denorm_mode_16_64 3
		.amdhsa_dx10_clamp 1
		.amdhsa_ieee_mode 1
		.amdhsa_fp16_overflow 0
		.amdhsa_exception_fp_ieee_invalid_op 0
		.amdhsa_exception_fp_denorm_src 0
		.amdhsa_exception_fp_ieee_div_zero 0
		.amdhsa_exception_fp_ieee_overflow 0
		.amdhsa_exception_fp_ieee_underflow 0
		.amdhsa_exception_fp_ieee_inexact 0
		.amdhsa_exception_int_div_zero 0
	.end_amdhsa_kernel
	.text
.Lfunc_end0:
	.size	bluestein_single_back_len882_dim1_half_op_CI_CI, .Lfunc_end0-bluestein_single_back_len882_dim1_half_op_CI_CI
                                        ; -- End function
	.section	.AMDGPU.csdata,"",@progbits
; Kernel info:
; codeLenInByte = 24604
; NumSgprs: 22
; NumVgprs: 94
; ScratchSize: 0
; MemoryBound: 0
; FloatMode: 240
; IeeeMode: 1
; LDSByteSize: 3528 bytes/workgroup (compile time only)
; SGPRBlocks: 2
; VGPRBlocks: 23
; NumSGPRsForWavesPerEU: 22
; NumVGPRsForWavesPerEU: 94
; Occupancy: 2
; WaveLimiterHint : 1
; COMPUTE_PGM_RSRC2:SCRATCH_EN: 0
; COMPUTE_PGM_RSRC2:USER_SGPR: 6
; COMPUTE_PGM_RSRC2:TRAP_HANDLER: 0
; COMPUTE_PGM_RSRC2:TGID_X_EN: 1
; COMPUTE_PGM_RSRC2:TGID_Y_EN: 0
; COMPUTE_PGM_RSRC2:TGID_Z_EN: 0
; COMPUTE_PGM_RSRC2:TIDIG_COMP_CNT: 0
	.type	__hip_cuid_4709cec599c69e91,@object ; @__hip_cuid_4709cec599c69e91
	.section	.bss,"aw",@nobits
	.globl	__hip_cuid_4709cec599c69e91
__hip_cuid_4709cec599c69e91:
	.byte	0                               ; 0x0
	.size	__hip_cuid_4709cec599c69e91, 1

	.ident	"AMD clang version 19.0.0git (https://github.com/RadeonOpenCompute/llvm-project roc-6.4.0 25133 c7fe45cf4b819c5991fe208aaa96edf142730f1d)"
	.section	".note.GNU-stack","",@progbits
	.addrsig
	.addrsig_sym __hip_cuid_4709cec599c69e91
	.amdgpu_metadata
---
amdhsa.kernels:
  - .args:
      - .actual_access:  read_only
        .address_space:  global
        .offset:         0
        .size:           8
        .value_kind:     global_buffer
      - .actual_access:  read_only
        .address_space:  global
        .offset:         8
        .size:           8
        .value_kind:     global_buffer
      - .actual_access:  read_only
        .address_space:  global
        .offset:         16
        .size:           8
        .value_kind:     global_buffer
      - .actual_access:  read_only
        .address_space:  global
        .offset:         24
        .size:           8
        .value_kind:     global_buffer
      - .actual_access:  read_only
        .address_space:  global
        .offset:         32
        .size:           8
        .value_kind:     global_buffer
      - .offset:         40
        .size:           8
        .value_kind:     by_value
      - .address_space:  global
        .offset:         48
        .size:           8
        .value_kind:     global_buffer
      - .address_space:  global
        .offset:         56
        .size:           8
        .value_kind:     global_buffer
      - .address_space:  global
        .offset:         64
        .size:           8
        .value_kind:     global_buffer
      - .address_space:  global
        .offset:         72
        .size:           8
        .value_kind:     global_buffer
      - .offset:         80
        .size:           4
        .value_kind:     by_value
      - .address_space:  global
        .offset:         88
        .size:           8
        .value_kind:     global_buffer
      - .address_space:  global
        .offset:         96
        .size:           8
        .value_kind:     global_buffer
    .group_segment_fixed_size: 3528
    .kernarg_segment_align: 8
    .kernarg_segment_size: 104
    .language:       OpenCL C
    .language_version:
      - 2
      - 0
    .max_flat_workgroup_size: 63
    .name:           bluestein_single_back_len882_dim1_half_op_CI_CI
    .private_segment_fixed_size: 0
    .sgpr_count:     22
    .sgpr_spill_count: 0
    .symbol:         bluestein_single_back_len882_dim1_half_op_CI_CI.kd
    .uniform_work_group_size: 1
    .uses_dynamic_stack: false
    .vgpr_count:     94
    .vgpr_spill_count: 0
    .wavefront_size: 64
amdhsa.target:   amdgcn-amd-amdhsa--gfx906
amdhsa.version:
  - 1
  - 2
...

	.end_amdgpu_metadata
